;; amdgpu-corpus repo=ROCm/rocFFT kind=compiled arch=gfx1100 opt=O3
	.text
	.amdgcn_target "amdgcn-amd-amdhsa--gfx1100"
	.amdhsa_code_object_version 6
	.protected	fft_rtc_back_len1890_factors_2_3_3_3_7_5_wgs_126_tpt_126_halfLds_sp_ip_CI_sbrr_dirReg ; -- Begin function fft_rtc_back_len1890_factors_2_3_3_3_7_5_wgs_126_tpt_126_halfLds_sp_ip_CI_sbrr_dirReg
	.globl	fft_rtc_back_len1890_factors_2_3_3_3_7_5_wgs_126_tpt_126_halfLds_sp_ip_CI_sbrr_dirReg
	.p2align	8
	.type	fft_rtc_back_len1890_factors_2_3_3_3_7_5_wgs_126_tpt_126_halfLds_sp_ip_CI_sbrr_dirReg,@function
fft_rtc_back_len1890_factors_2_3_3_3_7_5_wgs_126_tpt_126_halfLds_sp_ip_CI_sbrr_dirReg: ; @fft_rtc_back_len1890_factors_2_3_3_3_7_5_wgs_126_tpt_126_halfLds_sp_ip_CI_sbrr_dirReg
; %bb.0:
	s_clause 0x2
	s_load_b64 s[12:13], s[0:1], 0x18
	s_load_b128 s[4:7], s[0:1], 0x0
	s_load_b64 s[10:11], s[0:1], 0x50
	v_mul_u32_u24_e32 v1, 0x209, v0
	v_mov_b32_e32 v3, 0
	v_mov_b32_e32 v4, 0
	s_delay_alu instid0(VALU_DEP_3) | instskip(SKIP_1) | instid1(VALU_DEP_1)
	v_lshrrev_b32_e32 v2, 16, v1
	v_mov_b32_e32 v1, 0
	v_dual_mov_b32 v6, v1 :: v_dual_add_nc_u32 v5, s15, v2
	s_waitcnt lgkmcnt(0)
	s_load_b64 s[8:9], s[12:13], 0x0
	v_cmp_lt_u64_e64 s2, s[6:7], 2
	s_delay_alu instid0(VALU_DEP_1)
	s_and_b32 vcc_lo, exec_lo, s2
	s_cbranch_vccnz .LBB0_8
; %bb.1:
	s_load_b64 s[2:3], s[0:1], 0x10
	v_mov_b32_e32 v3, 0
	s_add_u32 s14, s12, 8
	v_mov_b32_e32 v4, 0
	s_addc_u32 s15, s13, 0
	s_mov_b64 s[18:19], 1
	s_waitcnt lgkmcnt(0)
	s_add_u32 s16, s2, 8
	s_addc_u32 s17, s3, 0
.LBB0_2:                                ; =>This Inner Loop Header: Depth=1
	s_load_b64 s[20:21], s[16:17], 0x0
                                        ; implicit-def: $vgpr7_vgpr8
	s_mov_b32 s2, exec_lo
	s_waitcnt lgkmcnt(0)
	v_or_b32_e32 v2, s21, v6
	s_delay_alu instid0(VALU_DEP_1)
	v_cmpx_ne_u64_e32 0, v[1:2]
	s_xor_b32 s3, exec_lo, s2
	s_cbranch_execz .LBB0_4
; %bb.3:                                ;   in Loop: Header=BB0_2 Depth=1
	v_cvt_f32_u32_e32 v2, s20
	v_cvt_f32_u32_e32 v7, s21
	s_sub_u32 s2, 0, s20
	s_subb_u32 s22, 0, s21
	s_delay_alu instid0(VALU_DEP_1) | instskip(NEXT) | instid1(VALU_DEP_1)
	v_fmac_f32_e32 v2, 0x4f800000, v7
	v_rcp_f32_e32 v2, v2
	s_waitcnt_depctr 0xfff
	v_mul_f32_e32 v2, 0x5f7ffffc, v2
	s_delay_alu instid0(VALU_DEP_1) | instskip(NEXT) | instid1(VALU_DEP_1)
	v_mul_f32_e32 v7, 0x2f800000, v2
	v_trunc_f32_e32 v7, v7
	s_delay_alu instid0(VALU_DEP_1) | instskip(SKIP_1) | instid1(VALU_DEP_2)
	v_fmac_f32_e32 v2, 0xcf800000, v7
	v_cvt_u32_f32_e32 v7, v7
	v_cvt_u32_f32_e32 v2, v2
	s_delay_alu instid0(VALU_DEP_2) | instskip(NEXT) | instid1(VALU_DEP_2)
	v_mul_lo_u32 v8, s2, v7
	v_mul_hi_u32 v9, s2, v2
	v_mul_lo_u32 v10, s22, v2
	s_delay_alu instid0(VALU_DEP_2) | instskip(SKIP_1) | instid1(VALU_DEP_2)
	v_add_nc_u32_e32 v8, v9, v8
	v_mul_lo_u32 v9, s2, v2
	v_add_nc_u32_e32 v8, v8, v10
	s_delay_alu instid0(VALU_DEP_2) | instskip(NEXT) | instid1(VALU_DEP_2)
	v_mul_hi_u32 v10, v2, v9
	v_mul_lo_u32 v11, v2, v8
	v_mul_hi_u32 v12, v2, v8
	v_mul_hi_u32 v13, v7, v9
	v_mul_lo_u32 v9, v7, v9
	v_mul_hi_u32 v14, v7, v8
	v_mul_lo_u32 v8, v7, v8
	v_add_co_u32 v10, vcc_lo, v10, v11
	v_add_co_ci_u32_e32 v11, vcc_lo, 0, v12, vcc_lo
	s_delay_alu instid0(VALU_DEP_2) | instskip(NEXT) | instid1(VALU_DEP_2)
	v_add_co_u32 v9, vcc_lo, v10, v9
	v_add_co_ci_u32_e32 v9, vcc_lo, v11, v13, vcc_lo
	v_add_co_ci_u32_e32 v10, vcc_lo, 0, v14, vcc_lo
	s_delay_alu instid0(VALU_DEP_2) | instskip(NEXT) | instid1(VALU_DEP_2)
	v_add_co_u32 v8, vcc_lo, v9, v8
	v_add_co_ci_u32_e32 v9, vcc_lo, 0, v10, vcc_lo
	s_delay_alu instid0(VALU_DEP_2) | instskip(NEXT) | instid1(VALU_DEP_2)
	v_add_co_u32 v2, vcc_lo, v2, v8
	v_add_co_ci_u32_e32 v7, vcc_lo, v7, v9, vcc_lo
	s_delay_alu instid0(VALU_DEP_2) | instskip(SKIP_1) | instid1(VALU_DEP_3)
	v_mul_hi_u32 v8, s2, v2
	v_mul_lo_u32 v10, s22, v2
	v_mul_lo_u32 v9, s2, v7
	s_delay_alu instid0(VALU_DEP_1) | instskip(SKIP_1) | instid1(VALU_DEP_2)
	v_add_nc_u32_e32 v8, v8, v9
	v_mul_lo_u32 v9, s2, v2
	v_add_nc_u32_e32 v8, v8, v10
	s_delay_alu instid0(VALU_DEP_2) | instskip(NEXT) | instid1(VALU_DEP_2)
	v_mul_hi_u32 v10, v2, v9
	v_mul_lo_u32 v11, v2, v8
	v_mul_hi_u32 v12, v2, v8
	v_mul_hi_u32 v13, v7, v9
	v_mul_lo_u32 v9, v7, v9
	v_mul_hi_u32 v14, v7, v8
	v_mul_lo_u32 v8, v7, v8
	v_add_co_u32 v10, vcc_lo, v10, v11
	v_add_co_ci_u32_e32 v11, vcc_lo, 0, v12, vcc_lo
	s_delay_alu instid0(VALU_DEP_2) | instskip(NEXT) | instid1(VALU_DEP_2)
	v_add_co_u32 v9, vcc_lo, v10, v9
	v_add_co_ci_u32_e32 v9, vcc_lo, v11, v13, vcc_lo
	v_add_co_ci_u32_e32 v10, vcc_lo, 0, v14, vcc_lo
	s_delay_alu instid0(VALU_DEP_2) | instskip(NEXT) | instid1(VALU_DEP_2)
	v_add_co_u32 v8, vcc_lo, v9, v8
	v_add_co_ci_u32_e32 v9, vcc_lo, 0, v10, vcc_lo
	s_delay_alu instid0(VALU_DEP_2) | instskip(NEXT) | instid1(VALU_DEP_2)
	v_add_co_u32 v2, vcc_lo, v2, v8
	v_add_co_ci_u32_e32 v13, vcc_lo, v7, v9, vcc_lo
	s_delay_alu instid0(VALU_DEP_2) | instskip(SKIP_1) | instid1(VALU_DEP_3)
	v_mul_hi_u32 v14, v5, v2
	v_mad_u64_u32 v[9:10], null, v6, v2, 0
	v_mad_u64_u32 v[7:8], null, v5, v13, 0
	;; [unrolled: 1-line block ×3, first 2 shown]
	s_delay_alu instid0(VALU_DEP_2) | instskip(NEXT) | instid1(VALU_DEP_3)
	v_add_co_u32 v2, vcc_lo, v14, v7
	v_add_co_ci_u32_e32 v7, vcc_lo, 0, v8, vcc_lo
	s_delay_alu instid0(VALU_DEP_2) | instskip(NEXT) | instid1(VALU_DEP_2)
	v_add_co_u32 v2, vcc_lo, v2, v9
	v_add_co_ci_u32_e32 v2, vcc_lo, v7, v10, vcc_lo
	v_add_co_ci_u32_e32 v7, vcc_lo, 0, v12, vcc_lo
	s_delay_alu instid0(VALU_DEP_2) | instskip(NEXT) | instid1(VALU_DEP_2)
	v_add_co_u32 v2, vcc_lo, v2, v11
	v_add_co_ci_u32_e32 v9, vcc_lo, 0, v7, vcc_lo
	s_delay_alu instid0(VALU_DEP_2) | instskip(SKIP_1) | instid1(VALU_DEP_3)
	v_mul_lo_u32 v10, s21, v2
	v_mad_u64_u32 v[7:8], null, s20, v2, 0
	v_mul_lo_u32 v11, s20, v9
	s_delay_alu instid0(VALU_DEP_2) | instskip(NEXT) | instid1(VALU_DEP_2)
	v_sub_co_u32 v7, vcc_lo, v5, v7
	v_add3_u32 v8, v8, v11, v10
	s_delay_alu instid0(VALU_DEP_1) | instskip(NEXT) | instid1(VALU_DEP_1)
	v_sub_nc_u32_e32 v10, v6, v8
	v_subrev_co_ci_u32_e64 v10, s2, s21, v10, vcc_lo
	v_add_co_u32 v11, s2, v2, 2
	s_delay_alu instid0(VALU_DEP_1) | instskip(SKIP_3) | instid1(VALU_DEP_3)
	v_add_co_ci_u32_e64 v12, s2, 0, v9, s2
	v_sub_co_u32 v13, s2, v7, s20
	v_sub_co_ci_u32_e32 v8, vcc_lo, v6, v8, vcc_lo
	v_subrev_co_ci_u32_e64 v10, s2, 0, v10, s2
	v_cmp_le_u32_e32 vcc_lo, s20, v13
	s_delay_alu instid0(VALU_DEP_3) | instskip(SKIP_1) | instid1(VALU_DEP_4)
	v_cmp_eq_u32_e64 s2, s21, v8
	v_cndmask_b32_e64 v13, 0, -1, vcc_lo
	v_cmp_le_u32_e32 vcc_lo, s21, v10
	v_cndmask_b32_e64 v14, 0, -1, vcc_lo
	v_cmp_le_u32_e32 vcc_lo, s20, v7
	;; [unrolled: 2-line block ×3, first 2 shown]
	v_cndmask_b32_e64 v15, 0, -1, vcc_lo
	v_cmp_eq_u32_e32 vcc_lo, s21, v10
	s_delay_alu instid0(VALU_DEP_2) | instskip(SKIP_3) | instid1(VALU_DEP_3)
	v_cndmask_b32_e64 v7, v15, v7, s2
	v_cndmask_b32_e32 v10, v14, v13, vcc_lo
	v_add_co_u32 v13, vcc_lo, v2, 1
	v_add_co_ci_u32_e32 v14, vcc_lo, 0, v9, vcc_lo
	v_cmp_ne_u32_e32 vcc_lo, 0, v10
	s_delay_alu instid0(VALU_DEP_2) | instskip(NEXT) | instid1(VALU_DEP_4)
	v_cndmask_b32_e32 v8, v14, v12, vcc_lo
	v_cndmask_b32_e32 v10, v13, v11, vcc_lo
	v_cmp_ne_u32_e32 vcc_lo, 0, v7
	s_delay_alu instid0(VALU_DEP_2)
	v_dual_cndmask_b32 v7, v2, v10 :: v_dual_cndmask_b32 v8, v9, v8
.LBB0_4:                                ;   in Loop: Header=BB0_2 Depth=1
	s_and_not1_saveexec_b32 s2, s3
	s_cbranch_execz .LBB0_6
; %bb.5:                                ;   in Loop: Header=BB0_2 Depth=1
	v_cvt_f32_u32_e32 v2, s20
	s_sub_i32 s3, 0, s20
	s_delay_alu instid0(VALU_DEP_1) | instskip(SKIP_2) | instid1(VALU_DEP_1)
	v_rcp_iflag_f32_e32 v2, v2
	s_waitcnt_depctr 0xfff
	v_mul_f32_e32 v2, 0x4f7ffffe, v2
	v_cvt_u32_f32_e32 v2, v2
	s_delay_alu instid0(VALU_DEP_1) | instskip(NEXT) | instid1(VALU_DEP_1)
	v_mul_lo_u32 v7, s3, v2
	v_mul_hi_u32 v7, v2, v7
	s_delay_alu instid0(VALU_DEP_1) | instskip(NEXT) | instid1(VALU_DEP_1)
	v_add_nc_u32_e32 v2, v2, v7
	v_mul_hi_u32 v2, v5, v2
	s_delay_alu instid0(VALU_DEP_1) | instskip(SKIP_1) | instid1(VALU_DEP_2)
	v_mul_lo_u32 v7, v2, s20
	v_add_nc_u32_e32 v8, 1, v2
	v_sub_nc_u32_e32 v7, v5, v7
	s_delay_alu instid0(VALU_DEP_1) | instskip(SKIP_1) | instid1(VALU_DEP_2)
	v_subrev_nc_u32_e32 v9, s20, v7
	v_cmp_le_u32_e32 vcc_lo, s20, v7
	v_dual_cndmask_b32 v7, v7, v9 :: v_dual_cndmask_b32 v2, v2, v8
	s_delay_alu instid0(VALU_DEP_1) | instskip(NEXT) | instid1(VALU_DEP_2)
	v_cmp_le_u32_e32 vcc_lo, s20, v7
	v_add_nc_u32_e32 v8, 1, v2
	s_delay_alu instid0(VALU_DEP_1)
	v_dual_cndmask_b32 v7, v2, v8 :: v_dual_mov_b32 v8, v1
.LBB0_6:                                ;   in Loop: Header=BB0_2 Depth=1
	s_or_b32 exec_lo, exec_lo, s2
	s_load_b64 s[2:3], s[14:15], 0x0
	s_delay_alu instid0(VALU_DEP_1) | instskip(NEXT) | instid1(VALU_DEP_2)
	v_mul_lo_u32 v2, v8, s20
	v_mul_lo_u32 v11, v7, s21
	v_mad_u64_u32 v[9:10], null, v7, s20, 0
	s_add_u32 s18, s18, 1
	s_addc_u32 s19, s19, 0
	s_add_u32 s14, s14, 8
	s_addc_u32 s15, s15, 0
	;; [unrolled: 2-line block ×3, first 2 shown]
	s_delay_alu instid0(VALU_DEP_1) | instskip(SKIP_1) | instid1(VALU_DEP_2)
	v_add3_u32 v2, v10, v11, v2
	v_sub_co_u32 v9, vcc_lo, v5, v9
	v_sub_co_ci_u32_e32 v2, vcc_lo, v6, v2, vcc_lo
	s_waitcnt lgkmcnt(0)
	s_delay_alu instid0(VALU_DEP_2) | instskip(NEXT) | instid1(VALU_DEP_2)
	v_mul_lo_u32 v10, s3, v9
	v_mul_lo_u32 v2, s2, v2
	v_mad_u64_u32 v[5:6], null, s2, v9, v[3:4]
	v_cmp_ge_u64_e64 s2, s[18:19], s[6:7]
	s_delay_alu instid0(VALU_DEP_1) | instskip(NEXT) | instid1(VALU_DEP_2)
	s_and_b32 vcc_lo, exec_lo, s2
	v_add3_u32 v4, v10, v6, v2
	s_delay_alu instid0(VALU_DEP_3)
	v_mov_b32_e32 v3, v5
	s_cbranch_vccnz .LBB0_9
; %bb.7:                                ;   in Loop: Header=BB0_2 Depth=1
	v_dual_mov_b32 v5, v7 :: v_dual_mov_b32 v6, v8
	s_branch .LBB0_2
.LBB0_8:
	v_dual_mov_b32 v8, v6 :: v_dual_mov_b32 v7, v5
.LBB0_9:
	s_lshl_b64 s[2:3], s[6:7], 3
	v_mul_hi_u32 v1, 0x2082083, v0
	s_add_u32 s2, s12, s2
	s_addc_u32 s3, s13, s3
	s_load_b64 s[0:1], s[0:1], 0x20
	s_load_b64 s[2:3], s[2:3], 0x0
                                        ; implicit-def: $vgpr45
                                        ; implicit-def: $vgpr44
                                        ; implicit-def: $vgpr49
                                        ; implicit-def: $vgpr46
                                        ; implicit-def: $vgpr43
	s_delay_alu instid0(VALU_DEP_1) | instskip(NEXT) | instid1(VALU_DEP_1)
	v_mul_u32_u24_e32 v1, 0x7e, v1
	v_sub_nc_u32_e32 v39, v0, v1
	s_delay_alu instid0(VALU_DEP_1)
	v_add_nc_u32_e32 v38, 0x7e, v39
	v_add_nc_u32_e32 v37, 0xfc, v39
	;; [unrolled: 1-line block ×5, first 2 shown]
	s_waitcnt lgkmcnt(0)
	v_cmp_gt_u64_e32 vcc_lo, s[0:1], v[7:8]
	v_mul_lo_u32 v2, s2, v8
	v_mul_lo_u32 v5, s3, v7
	v_mad_u64_u32 v[0:1], null, s2, v7, v[3:4]
	v_cmp_le_u64_e64 s0, s[0:1], v[7:8]
	v_add_nc_u32_e32 v42, 0x2f4, v39
                                        ; implicit-def: $sgpr2
	s_delay_alu instid0(VALU_DEP_3) | instskip(NEXT) | instid1(VALU_DEP_3)
	v_add3_u32 v1, v5, v1, v2
	s_and_saveexec_b32 s1, s0
	s_delay_alu instid0(SALU_CYCLE_1)
	s_xor_b32 s0, exec_lo, s1
; %bb.10:
	v_add_nc_u32_e32 v45, 0x7e, v39
	v_add_nc_u32_e32 v44, 0xfc, v39
	;; [unrolled: 1-line block ×6, first 2 shown]
	s_mov_b32 s2, 0
; %bb.11:
	s_or_saveexec_b32 s1, s0
	v_lshlrev_b64 v[4:5], 3, v[0:1]
	v_dual_mov_b32 v20, s2 :: v_dual_mov_b32 v19, s2
                                        ; implicit-def: $vgpr1
                                        ; implicit-def: $vgpr9
                                        ; implicit-def: $vgpr3
                                        ; implicit-def: $vgpr15
                                        ; implicit-def: $vgpr13
                                        ; implicit-def: $vgpr17
                                        ; implicit-def: $vgpr22
                                        ; implicit-def: $vgpr32
                                        ; implicit-def: $vgpr24
                                        ; implicit-def: $vgpr34
                                        ; implicit-def: $vgpr26
                                        ; implicit-def: $vgpr30
                                        ; implicit-def: $vgpr36
                                        ; implicit-def: $vgpr28
                                        ; implicit-def: $vgpr11
	s_xor_b32 exec_lo, exec_lo, s1
	s_cbranch_execz .LBB0_15
; %bb.12:
	v_add_nc_u32_e32 v12, 0x3b1, v39
	v_mad_u64_u32 v[0:1], null, s8, v39, 0
	v_mad_u64_u32 v[8:9], null, s8, v38, 0
	s_delay_alu instid0(VALU_DEP_3)
	v_mad_u64_u32 v[2:3], null, s8, v12, 0
	v_add_nc_u32_e32 v15, 0x42f, v39
	v_mad_u64_u32 v[21:22], null, s8, v41, 0
	v_add_nc_u32_e32 v25, 0x4ad, v39
	v_mad_u64_u32 v[29:30], null, s8, v40, 0
	v_mad_u64_u32 v[6:7], null, s9, v39, v[1:2]
	v_mov_b32_e32 v1, v3
	v_dual_mov_b32 v3, v9 :: v_dual_add_nc_u32 v36, 0x627, v39
	s_mov_b32 s2, exec_lo
	v_add_nc_u32_e32 v26, 0x52b, v39
	s_delay_alu instid0(VALU_DEP_3) | instskip(SKIP_2) | instid1(VALU_DEP_2)
	v_mad_u64_u32 v[10:11], null, s9, v12, v[1:2]
	v_mad_u64_u32 v[11:12], null, s8, v15, 0
	;; [unrolled: 1-line block ×3, first 2 shown]
	v_dual_mov_b32 v3, v10 :: v_dual_mov_b32 v10, v12
	s_delay_alu instid0(VALU_DEP_2) | instskip(NEXT) | instid1(VALU_DEP_2)
	v_mov_b32_e32 v9, v13
	v_lshlrev_b64 v[2:3], 3, v[2:3]
	s_delay_alu instid0(VALU_DEP_3) | instskip(SKIP_4) | instid1(VALU_DEP_3)
	v_mad_u64_u32 v[12:13], null, s9, v15, v[10:11]
	v_mad_u64_u32 v[15:16], null, s8, v25, 0
	v_mov_b32_e32 v1, v6
	v_add_co_u32 v6, s0, s10, v4
	v_mad_u64_u32 v[13:14], null, s8, v37, 0
	v_lshlrev_b64 v[0:1], 3, v[0:1]
	v_add_co_ci_u32_e64 v7, s0, s11, v5, s0
	v_lshlrev_b64 v[8:9], 3, v[8:9]
	s_delay_alu instid0(VALU_DEP_3) | instskip(NEXT) | instid1(VALU_DEP_1)
	v_add_co_u32 v0, s0, v6, v0
	v_add_co_ci_u32_e64 v1, s0, v7, v1, s0
	v_add_co_u32 v2, s0, v6, v2
	v_mov_b32_e32 v10, v14
	v_add_co_ci_u32_e64 v3, s0, v7, v3, s0
	v_add_co_u32 v19, s0, v6, v8
	s_delay_alu instid0(VALU_DEP_1) | instskip(SKIP_4) | instid1(VALU_DEP_4)
	v_add_co_ci_u32_e64 v20, s0, v7, v9, s0
	v_lshlrev_b64 v[8:9], 3, v[11:12]
	v_mad_u64_u32 v[11:12], null, s9, v37, v[10:11]
	v_mov_b32_e32 v10, v16
	v_mov_b32_e32 v12, v22
	v_add_co_u32 v16, s0, v6, v8
	s_delay_alu instid0(VALU_DEP_1) | instskip(SKIP_3) | instid1(VALU_DEP_3)
	v_add_co_ci_u32_e64 v17, s0, v7, v9, s0
	v_mov_b32_e32 v14, v11
	v_mad_u64_u32 v[23:24], null, s9, v25, v[10:11]
	v_mad_u64_u32 v[24:25], null, s8, v26, 0
	v_lshlrev_b64 v[13:14], 3, v[13:14]
	s_clause 0x3
	global_load_b64 v[0:1], v[0:1], off
	global_load_b64 v[8:9], v[2:3], off
	;; [unrolled: 1-line block ×4, first 2 shown]
	v_dual_mov_b32 v16, v23 :: v_dual_add_nc_u32 v17, 0x5a9, v39
	v_mad_u64_u32 v[19:20], null, s9, v41, v[12:13]
	v_mov_b32_e32 v12, v25
	v_add_co_u32 v13, s0, v6, v13
	s_delay_alu instid0(VALU_DEP_4) | instskip(SKIP_2) | instid1(VALU_DEP_4)
	v_lshlrev_b64 v[15:16], 3, v[15:16]
	v_add_co_ci_u32_e64 v14, s0, v7, v14, s0
	v_mov_b32_e32 v22, v19
	v_mad_u64_u32 v[19:20], null, s9, v26, v[12:13]
	s_delay_alu instid0(VALU_DEP_4) | instskip(NEXT) | instid1(VALU_DEP_1)
	v_add_co_u32 v26, s0, v6, v15
	v_add_co_ci_u32_e64 v27, s0, v7, v16, s0
	s_delay_alu instid0(VALU_DEP_4) | instskip(NEXT) | instid1(VALU_DEP_4)
	v_lshlrev_b64 v[15:16], 3, v[21:22]
	v_dual_mov_b32 v12, v30 :: v_dual_mov_b32 v25, v19
	v_mad_u64_u32 v[19:20], null, s8, v17, 0
	s_delay_alu instid0(VALU_DEP_3) | instskip(NEXT) | instid1(VALU_DEP_1)
	v_add_co_u32 v21, s0, v6, v15
	v_add_co_ci_u32_e64 v22, s0, v7, v16, s0
	s_delay_alu instid0(VALU_DEP_4) | instskip(SKIP_3) | instid1(VALU_DEP_4)
	v_lshlrev_b64 v[15:16], 3, v[24:25]
	v_mad_u64_u32 v[23:24], null, s9, v40, v[12:13]
	v_mov_b32_e32 v12, v20
	v_mad_u64_u32 v[24:25], null, s8, v18, 0
	v_add_co_u32 v31, s0, v6, v15
	s_delay_alu instid0(VALU_DEP_3) | instskip(SKIP_1) | instid1(VALU_DEP_4)
	v_mad_u64_u32 v[33:34], null, s9, v17, v[12:13]
	v_mad_u64_u32 v[34:35], null, s8, v36, 0
	v_dual_mov_b32 v30, v23 :: v_dual_mov_b32 v23, v25
	v_add_co_ci_u32_e64 v32, s0, v7, v16, s0
	s_clause 0x3
	global_load_b64 v[14:15], v[13:14], off
	global_load_b64 v[27:28], v[26:27], off
	;; [unrolled: 1-line block ×4, first 2 shown]
	v_lshlrev_b64 v[21:22], 3, v[29:30]
	v_mad_u64_u32 v[25:26], null, s9, v18, v[23:24]
	v_mov_b32_e32 v23, v35
	v_mad_u64_u32 v[29:30], null, s8, v42, 0
	v_add_nc_u32_e32 v26, 0x6a5, v39
	v_mov_b32_e32 v20, v33
	s_delay_alu instid0(VALU_DEP_4) | instskip(SKIP_1) | instid1(VALU_DEP_4)
	v_mad_u64_u32 v[31:32], null, s9, v36, v[23:24]
	v_add_co_u32 v21, s0, v6, v21
	v_mad_u64_u32 v[32:33], null, s8, v26, 0
	v_mov_b32_e32 v23, v30
	v_add_co_ci_u32_e64 v22, s0, v7, v22, s0
	v_mov_b32_e32 v35, v31
	s_delay_alu instid0(VALU_DEP_3) | instskip(SKIP_2) | instid1(VALU_DEP_4)
	v_mad_u64_u32 v[30:31], null, s9, v42, v[23:24]
	v_lshlrev_b64 v[24:25], 3, v[24:25]
	v_mov_b32_e32 v23, v33
	v_lshlrev_b64 v[34:35], 3, v[34:35]
	s_delay_alu instid0(VALU_DEP_2) | instskip(NEXT) | instid1(VALU_DEP_1)
	v_mad_u64_u32 v[43:44], null, s9, v26, v[23:24]
	v_mov_b32_e32 v33, v43
	v_lshlrev_b64 v[19:20], 3, v[19:20]
	s_delay_alu instid0(VALU_DEP_2) | instskip(NEXT) | instid1(VALU_DEP_2)
	v_lshlrev_b64 v[31:32], 3, v[32:33]
	v_add_co_u32 v19, s0, v6, v19
	s_delay_alu instid0(VALU_DEP_1) | instskip(SKIP_1) | instid1(VALU_DEP_1)
	v_add_co_ci_u32_e64 v20, s0, v7, v20, s0
	v_add_co_u32 v23, s0, v6, v24
	v_add_co_ci_u32_e64 v24, s0, v7, v25, s0
	v_lshlrev_b64 v[25:26], 3, v[29:30]
	v_add_co_u32 v29, s0, v6, v34
	s_delay_alu instid0(VALU_DEP_1) | instskip(NEXT) | instid1(VALU_DEP_3)
	v_add_co_ci_u32_e64 v30, s0, v7, v35, s0
	v_add_co_u32 v25, s0, v6, v25
	s_delay_alu instid0(VALU_DEP_1) | instskip(SKIP_1) | instid1(VALU_DEP_1)
	v_add_co_ci_u32_e64 v26, s0, v7, v26, s0
	v_add_co_u32 v35, s0, v6, v31
	v_add_co_ci_u32_e64 v36, s0, v7, v32, s0
	s_clause 0x5
	global_load_b64 v[21:22], v[21:22], off
	global_load_b64 v[31:32], v[19:20], off
	;; [unrolled: 1-line block ×6, first 2 shown]
	v_dual_mov_b32 v19, 0 :: v_dual_mov_b32 v20, 0
                                        ; implicit-def: $vgpr29
	v_cmpx_gt_u32_e32 63, v39
	s_cbranch_execz .LBB0_14
; %bb.13:
	v_add_nc_u32_e32 v45, 0x372, v39
	v_add_nc_u32_e32 v46, 0x723, v39
	s_delay_alu instid0(VALU_DEP_2) | instskip(NEXT) | instid1(VALU_DEP_2)
	v_mad_u64_u32 v[19:20], null, s8, v45, 0
	v_mad_u64_u32 v[29:30], null, s8, v46, 0
	s_waitcnt vmcnt(5)
	s_delay_alu instid0(VALU_DEP_2) | instskip(SKIP_1) | instid1(VALU_DEP_2)
	v_mad_u64_u32 v[43:44], null, s9, v45, v[20:21]
	s_waitcnt vmcnt(4)
	v_mad_u64_u32 v[44:45], null, s9, v46, v[30:31]
	s_delay_alu instid0(VALU_DEP_2) | instskip(NEXT) | instid1(VALU_DEP_2)
	v_mov_b32_e32 v20, v43
	v_mov_b32_e32 v30, v44
	s_delay_alu instid0(VALU_DEP_2) | instskip(NEXT) | instid1(VALU_DEP_2)
	v_lshlrev_b64 v[19:20], 3, v[19:20]
	v_lshlrev_b64 v[29:30], 3, v[29:30]
	s_delay_alu instid0(VALU_DEP_2) | instskip(NEXT) | instid1(VALU_DEP_1)
	v_add_co_u32 v19, s0, v6, v19
	v_add_co_ci_u32_e64 v20, s0, v7, v20, s0
	s_delay_alu instid0(VALU_DEP_3) | instskip(NEXT) | instid1(VALU_DEP_1)
	v_add_co_u32 v6, s0, v6, v29
	v_add_co_ci_u32_e64 v7, s0, v7, v30, s0
	s_clause 0x1
	global_load_b64 v[19:20], v[19:20], off
	global_load_b64 v[29:30], v[6:7], off
.LBB0_14:
	s_or_b32 exec_lo, exec_lo, s2
	v_dual_mov_b32 v43, v42 :: v_dual_mov_b32 v46, v40
	v_mov_b32_e32 v49, v41
	v_dual_mov_b32 v44, v37 :: v_dual_mov_b32 v45, v38
.LBB0_15:
	s_or_b32 exec_lo, exec_lo, s1
	s_waitcnt vmcnt(10)
	v_dual_sub_f32 v7, v0, v8 :: v_dual_sub_f32 v48, v2, v10
	s_waitcnt vmcnt(0)
	v_dual_sub_f32 v55, v21, v31 :: v_dual_sub_f32 v8, v19, v29
	v_dual_sub_f32 v51, v14, v27 :: v_dual_sub_f32 v58, v23, v33
	v_dual_sub_f32 v53, v12, v16 :: v_dual_sub_f32 v60, v25, v35
	v_fma_f32 v6, v0, 2.0, -v7
	v_lshl_add_u32 v0, v39, 3, 0
	v_add_nc_u32_e32 v33, 0x372, v39
	v_fma_f32 v47, v2, 2.0, -v48
	v_fma_f32 v54, v21, 2.0, -v55
	v_lshl_add_u32 v21, v45, 3, 0
	v_fma_f32 v50, v14, 2.0, -v51
	v_fma_f32 v57, v23, 2.0, -v58
	v_lshl_add_u32 v23, v44, 3, 0
	v_fma_f32 v52, v12, 2.0, -v53
	v_fma_f32 v59, v25, 2.0, -v60
	ds_store_b64 v0, v[6:7]
	ds_store_b64 v21, v[47:48]
	ds_store_b64 v23, v[50:51]
	v_lshl_add_u32 v48, v49, 3, 0
	v_lshl_add_u32 v56, v46, 3, 0
	;; [unrolled: 1-line block ×4, first 2 shown]
	v_cmp_gt_u32_e64 s0, 63, v39
	v_lshl_add_u32 v2, v33, 3, 0
	ds_store_b64 v48, v[52:53]
	ds_store_b64 v56, v[54:55]
	;; [unrolled: 1-line block ×4, first 2 shown]
	s_and_saveexec_b32 s1, s0
	s_cbranch_execz .LBB0_17
; %bb.16:
	v_fma_f32 v7, v19, 2.0, -v8
	ds_store_b64 v2, v[7:8]
.LBB0_17:
	s_or_b32 exec_lo, exec_lo, s1
	v_dual_sub_f32 v59, v1, v9 :: v_dual_lshlrev_b32 v6, 2, v39
	v_sub_f32_e32 v62, v3, v11
	v_dual_sub_f32 v66, v13, v17 :: v_dual_sub_f32 v35, v22, v32
	s_delay_alu instid0(VALU_DEP_3)
	v_sub_nc_u32_e32 v32, v0, v6
	v_dual_sub_f32 v68, v24, v34 :: v_dual_lshlrev_b32 v9, 2, v45
	v_lshlrev_b32_e32 v7, 2, v44
	v_dual_sub_f32 v70, v26, v36 :: v_dual_lshlrev_b32 v27, 2, v49
	v_lshlrev_b32_e32 v50, 2, v46
	v_sub_f32_e32 v64, v15, v28
	v_fma_f32 v58, v1, 2.0, -v59
	v_lshlrev_b32_e32 v1, 2, v18
	v_add_nc_u32_e32 v28, 0x1200, v32
	v_add_nc_u32_e32 v29, 0xa00, v32
	;; [unrolled: 1-line block ×4, first 2 shown]
	v_sub_nc_u32_e32 v11, v21, v9
	v_sub_nc_u32_e32 v34, v23, v7
	;; [unrolled: 1-line block ×4, first 2 shown]
	v_fma_f32 v61, v3, 2.0, -v62
	v_fma_f32 v63, v15, 2.0, -v64
	;; [unrolled: 1-line block ×3, first 2 shown]
	s_waitcnt lgkmcnt(0)
	s_barrier
	buffer_gl0_inv
	ds_load_b32 v51, v32
	v_sub_nc_u32_e32 v3, v25, v1
	ds_load_2addr_b32 v[14:15], v28 offset0:108 offset1:234
	ds_load_2addr_b32 v[12:13], v29 offset0:116 offset1:242
	;; [unrolled: 1-line block ×4, first 2 shown]
	ds_load_b32 v55, v11
	ds_load_b32 v54, v34
	;; [unrolled: 1-line block ×5, first 2 shown]
	ds_load_b32 v57, v32 offset:7056
	v_fma_f32 v34, v22, 2.0, -v35
	v_fma_f32 v67, v24, 2.0, -v68
	v_fma_f32 v69, v26, 2.0, -v70
	v_sub_f32_e32 v11, v20, v30
	v_sub_nc_u32_e32 v26, 0, v1
	v_sub_nc_u32_e32 v24, 0, v9
	;; [unrolled: 1-line block ×5, first 2 shown]
	s_waitcnt lgkmcnt(0)
	s_barrier
	buffer_gl0_inv
	ds_store_b64 v0, v[58:59]
	ds_store_b64 v21, v[61:62]
	;; [unrolled: 1-line block ×7, first 2 shown]
	s_and_saveexec_b32 s1, s0
	s_cbranch_execz .LBB0_19
; %bb.18:
	v_fma_f32 v10, v20, 2.0, -v11
	ds_store_b64 v2, v[10:11]
.LBB0_19:
	s_or_b32 exec_lo, exec_lo, s1
	v_and_b32_e32 v64, 1, v39
	s_waitcnt lgkmcnt(0)
	s_barrier
	buffer_gl0_inv
	v_add_nc_u32_e32 v50, v25, v26
	v_add_nc_u32_e32 v35, v23, v22
	ds_load_2addr_b32 v[22:23], v31 offset0:104 offset1:230
	v_add_nc_u32_e32 v34, v21, v24
	ds_load_2addr_b32 v[24:25], v29 offset0:116 offset1:242
	v_lshlrev_b32_e32 v0, 4, v64
	ds_load_2addr_b32 v[20:21], v47 offset0:112 offset1:238
	ds_load_2addr_b32 v[26:27], v28 offset0:108 offset1:234
	v_lshrrev_b32_e32 v63, 1, v44
	v_lshrrev_b32_e32 v65, 1, v49
	global_load_b128 v[0:3], v0, s[4:5]
	v_add_nc_u32_e32 v30, v56, v30
	v_and_b32_e32 v56, 0xffff, v44
	v_mul_lo_u32 v76, v63, 6
	v_mul_lo_u32 v65, v65, 6
	v_add_nc_u32_e32 v36, v48, v36
	v_lshrrev_b32_e32 v61, 1, v39
	v_and_b32_e32 v48, 0xff, v39
	v_lshrrev_b32_e32 v62, 1, v45
	v_lshrrev_b32_e32 v66, 1, v46
	v_and_b32_e32 v10, 0xff, v45
	v_mul_u32_u24_e32 v74, 6, v61
	v_or_b32_e32 v65, v65, v64
	v_mul_lo_u32 v75, v62, 6
	v_mul_lo_u32 v66, v66, 6
	v_and_b32_e32 v59, 0xffff, v46
	v_cmp_gt_u32_e64 s0, 18, v39
	v_lshl_add_u32 v83, v65, 2, 0
	s_waitcnt vmcnt(0) lgkmcnt(1)
	v_mul_f32_e32 v101, v21, v1
	v_mul_u32_u24_e32 v63, 0xaaab, v56
	s_waitcnt lgkmcnt(0)
	v_mul_f32_e32 v91, v27, v3
	v_mul_f32_e32 v93, v25, v1
	;; [unrolled: 1-line block ×4, first 2 shown]
	v_lshrrev_b32_e32 v63, 18, v63
	v_mul_lo_u16 v61, 0xab, v48
	v_mul_f32_e32 v99, v23, v3
	ds_load_b32 v68, v32
	ds_load_b32 v67, v32 offset:7056
	ds_load_b32 v69, v35
	ds_load_b32 v70, v36
	;; [unrolled: 1-line block ×5, first 2 shown]
	v_dual_fmac_f32 v91, v15, v2 :: v_dual_and_b32 v58, 0xffff, v49
	v_mul_lo_u16 v80, v63, 6
	v_lshrrev_b16 v61, 10, v61
	v_dual_mul_f32 v89, v24, v1 :: v_dual_mul_f32 v92, v15, v3
	v_mul_f32_e32 v88, v14, v3
	s_delay_alu instid0(VALU_DEP_4) | instskip(SKIP_2) | instid1(VALU_DEP_3)
	v_sub_nc_u16 v65, v44, v80
	v_dual_mul_f32 v96, v16, v3 :: v_dual_fmac_f32 v93, v13, v0
	v_dual_mul_f32 v100, v17, v3 :: v_dual_fmac_f32 v97, v18, v0
	v_and_b32_e32 v85, 0xffff, v65
	v_mul_f32_e32 v65, v60, v1
	v_or_b32_e32 v74, v74, v64
	v_or_b32_e32 v75, v75, v64
	;; [unrolled: 1-line block ×4, first 2 shown]
	v_mul_lo_u16 v66, v61, 6
	v_fma_f32 v15, v26, v2, -v88
	v_mul_u32_u24_e32 v77, 0xaaab, v58
	v_fmac_f32_e32 v101, v19, v0
	v_lshl_add_u32 v84, v64, 2, 0
	v_sub_nc_u16 v66, v39, v66
	s_waitcnt lgkmcnt(0)
	v_mul_f32_e32 v64, v73, v1
	v_dual_mul_f32 v98, v18, v1 :: v_dual_fmac_f32 v99, v17, v2
	s_delay_alu instid0(VALU_DEP_3) | instskip(SKIP_2) | instid1(VALU_DEP_4)
	v_dual_fmac_f32 v89, v12, v0 :: v_dual_and_b32 v80, 0xff, v66
	v_mul_f32_e32 v66, v26, v3
	v_lshrrev_b32_e32 v77, 18, v77
	v_fma_f32 v18, v20, v0, -v98
	v_fma_f32 v17, v23, v2, -v100
	s_delay_alu instid0(VALU_DEP_4)
	v_dual_add_f32 v23, v89, v91 :: v_dual_fmac_f32 v66, v14, v2
	v_fma_f32 v14, v73, v0, -v65
	v_fmac_f32_e32 v64, v60, v0
	v_mul_f32_e32 v102, v67, v3
	v_mul_f32_e32 v3, v57, v3
	v_mul_lo_u16 v62, 0xab, v10
	v_add_f32_e32 v20, v68, v14
	v_mul_f32_e32 v90, v12, v1
	v_mul_lo_u16 v81, v77, 6
	v_lshl_add_u32 v74, v74, 2, 0
	v_lshrrev_b16 v62, 10, v62
	v_lshl_add_u32 v75, v75, 2, 0
	v_mul_f32_e32 v94, v13, v1
	v_dual_mul_f32 v1, v19, v1 :: v_dual_lshlrev_b32 v86, 4, v80
	v_fmac_f32_e32 v95, v16, v2
	v_mul_lo_u16 v79, v62, 6
	v_fma_f32 v12, v24, v0, -v90
	v_fma_f32 v24, v27, v2, -v92
	;; [unrolled: 1-line block ×4, first 2 shown]
	v_sub_nc_u16 v79, v45, v79
	v_fma_f32 v0, v21, v0, -v1
	v_fma_f32 v1, v67, v2, -v3
	v_sub_f32_e32 v19, v14, v15
	v_add_f32_e32 v3, v64, v66
	v_dual_fmac_f32 v102, v57, v2 :: v_dual_and_b32 v79, 0xff, v79
	v_sub_f32_e32 v25, v12, v24
	v_dual_add_f32 v2, v51, v64 :: v_dual_sub_f32 v21, v64, v66
	s_delay_alu instid0(VALU_DEP_3)
	v_lshlrev_b32_e32 v87, 4, v79
	v_add_f32_e32 v60, v93, v95
	v_dual_add_f32 v14, v14, v15 :: v_dual_add_f32 v65, v69, v13
	v_dual_add_f32 v22, v55, v89 :: v_dual_sub_f32 v27, v89, v91
	v_dual_add_f32 v26, v72, v12 :: v_dual_add_f32 v57, v54, v93
	v_dual_add_f32 v12, v12, v24 :: v_dual_sub_f32 v67, v93, v95
	v_dual_sub_f32 v64, v13, v16 :: v_dual_add_f32 v93, v52, v101
	v_dual_add_f32 v13, v13, v16 :: v_dual_add_f32 v90, v70, v18
	v_dual_add_f32 v73, v53, v97 :: v_dual_add_f32 v2, v2, v66
	v_dual_add_f32 v88, v97, v99 :: v_dual_sub_f32 v89, v18, v17
	v_dual_add_f32 v18, v18, v17 :: v_dual_fmac_f32 v51, -0.5, v3
	v_sub_f32_e32 v92, v97, v99
	v_dual_add_f32 v94, v101, v102 :: v_dual_add_f32 v3, v20, v15
	v_dual_sub_f32 v96, v0, v1 :: v_dual_fmac_f32 v55, -0.5, v23
	v_dual_add_f32 v97, v71, v0 :: v_dual_add_f32 v0, v0, v1
	v_fmac_f32_e32 v54, -0.5, v60
	v_sub_nc_u16 v81, v49, v81
	v_dual_sub_f32 v98, v101, v102 :: v_dual_fmac_f32 v69, -0.5, v13
	v_dual_fmac_f32 v68, -0.5, v14 :: v_dual_fmac_f32 v53, -0.5, v88
	v_dual_fmac_f32 v72, -0.5, v12 :: v_dual_add_f32 v17, v90, v17
	v_add_f32_e32 v13, v73, v99
	v_dual_add_f32 v12, v57, v95 :: v_dual_fmac_f32 v71, -0.5, v0
	v_fmac_f32_e32 v52, -0.5, v94
	v_fmamk_f32 v0, v19, 0xbf5db3d7, v51
	v_fmac_f32_e32 v51, 0x3f5db3d7, v19
	v_dual_add_f32 v14, v22, v91 :: v_dual_add_f32 v1, v97, v1
	v_fmamk_f32 v20, v25, 0xbf5db3d7, v55
	v_dual_add_f32 v16, v65, v16 :: v_dual_fmac_f32 v55, 0x3f5db3d7, v25
	v_lshl_add_u32 v76, v76, 2, 0
	v_fmamk_f32 v22, v64, 0xbf5db3d7, v54
	s_barrier
	buffer_gl0_inv
	v_dual_add_f32 v15, v26, v24 :: v_dual_fmac_f32 v70, -0.5, v18
	v_dual_fmamk_f32 v23, v67, 0x3f5db3d7, v69 :: v_dual_add_f32 v18, v93, v102
	v_fmamk_f32 v19, v21, 0x3f5db3d7, v68
	v_fmac_f32_e32 v68, 0xbf5db3d7, v21
	v_fmamk_f32 v21, v27, 0x3f5db3d7, v72
	v_fmac_f32_e32 v72, 0xbf5db3d7, v27
	v_fmac_f32_e32 v54, 0x3f5db3d7, v64
	;; [unrolled: 1-line block ×3, first 2 shown]
	v_fmamk_f32 v24, v89, 0xbf5db3d7, v53
	v_fmac_f32_e32 v53, 0x3f5db3d7, v89
	v_fmamk_f32 v26, v96, 0xbf5db3d7, v52
	v_dual_fmac_f32 v52, 0x3f5db3d7, v96 :: v_dual_fmamk_f32 v27, v98, 0x3f5db3d7, v71
	ds_store_2addr_b32 v74, v2, v0 offset1:2
	ds_store_b32 v74, v51 offset:16
	ds_store_2addr_b32 v75, v14, v20 offset1:2
	ds_store_b32 v75, v55 offset:16
	ds_store_2addr_b32 v76, v12, v22 offset1:2
	ds_store_b32 v76, v54 offset:16
	ds_store_2addr_b32 v83, v13, v24 offset1:2
	ds_store_b32 v83, v53 offset:16
	ds_store_2addr_b32 v84, v18, v26 offset1:2
	ds_store_b32 v84, v52 offset:16
	v_and_b32_e32 v55, 0xffff, v81
	v_mul_u32_u24_e32 v78, 0xaaab, v59
	v_fmamk_f32 v25, v92, 0x3f5db3d7, v70
	v_dual_fmac_f32 v70, 0xbf5db3d7, v92 :: v_dual_fmac_f32 v71, 0xbf5db3d7, v98
	s_waitcnt lgkmcnt(0)
	s_barrier
	buffer_gl0_inv
	ds_load_b32 v73, v32
	ds_load_2addr_b32 v[51:52], v28 offset0:108 offset1:234
	ds_load_2addr_b32 v[53:54], v29 offset0:116 offset1:242
	;; [unrolled: 1-line block ×4, first 2 shown]
	ds_load_b32 v88, v35
	ds_load_b32 v89, v36
	;; [unrolled: 1-line block ×5, first 2 shown]
	ds_load_b32 v93, v32 offset:7056
	s_waitcnt lgkmcnt(0)
	s_barrier
	buffer_gl0_inv
	v_lshlrev_b32_e32 v20, 4, v55
	ds_store_2addr_b32 v74, v3, v19 offset1:2
	ds_store_b32 v74, v68 offset:16
	ds_store_2addr_b32 v75, v15, v21 offset1:2
	ds_store_b32 v75, v72 offset:16
	;; [unrolled: 2-line block ×5, first 2 shown]
	s_waitcnt lgkmcnt(0)
	s_barrier
	buffer_gl0_inv
	global_load_b128 v[0:3], v86, s[4:5] offset:32
	v_lshrrev_b32_e32 v78, 18, v78
	v_lshlrev_b32_e32 v17, 4, v85
	global_load_b128 v[12:15], v87, s[4:5] offset:32
	v_mul_lo_u16 v60, v48, 57
	v_mul_lo_u16 v68, v10, 57
	;; [unrolled: 1-line block ×3, first 2 shown]
	v_mul_u32_u24_e32 v56, 0xe38f, v56
	v_mul_u32_u24_e32 v58, 0xe38f, v58
	;; [unrolled: 1-line block ×3, first 2 shown]
	v_lshrrev_b16 v71, 10, v60
	v_sub_nc_u16 v16, v46, v82
	v_lshrrev_b16 v72, 10, v68
	v_lshrrev_b32_e32 v74, 20, v56
	v_lshrrev_b32_e32 v75, 20, v58
	;; [unrolled: 1-line block ×3, first 2 shown]
	v_and_b32_e32 v57, 0xffff, v16
	global_load_b128 v[16:19], v17, s[4:5] offset:32
	v_and_b32_e32 v56, 0xffff, v61
	v_and_b32_e32 v58, 0xffff, v62
	v_mul_u32_u24_e32 v59, 0x48, v63
	v_lshlrev_b32_e32 v24, 4, v57
	s_clause 0x1
	global_load_b128 v[20:23], v20, s[4:5] offset:32
	global_load_b128 v[24:27], v24, s[4:5] offset:32
	ds_load_b32 v81, v50
	v_mul_lo_u16 v62, v71, 18
	v_mul_lo_u16 v63, v72, 18
	;; [unrolled: 1-line block ×3, first 2 shown]
	v_mul_u32_u24_e32 v70, 0x48, v56
	v_mul_lo_u16 v69, v75, 18
	v_sub_nc_u16 v56, v39, v62
	v_sub_nc_u16 v62, v45, v63
	v_sub_nc_u16 v63, v44, v68
	v_lshlrev_b32_e32 v68, 2, v85
	v_mul_u32_u24_e32 v58, 0x48, v58
	v_mul_u32_u24_e32 v60, 0x48, v77
	v_and_b32_e32 v87, 0xff, v62
	v_lshlrev_b32_e32 v62, 2, v79
	v_mul_u32_u24_e32 v61, 0x48, v78
	v_sub_nc_u16 v78, v49, v69
	v_and_b32_e32 v86, 0xff, v56
	v_lshlrev_b32_e32 v49, 2, v80
	v_lshlrev_b32_e32 v69, 2, v55
	ds_load_2addr_b32 v[55:56], v28 offset0:108 offset1:234
	v_add3_u32 v95, 0, v59, v68
	v_add3_u32 v94, 0, v58, v62
	;; [unrolled: 1-line block ×4, first 2 shown]
	v_mul_lo_u16 v77, v76, 18
	s_waitcnt vmcnt(4) lgkmcnt(1)
	v_mul_f32_e32 v68, v81, v1
	v_lshlrev_b32_e32 v79, 2, v57
	ds_load_2addr_b32 v[57:58], v29 offset0:116 offset1:242
	s_waitcnt lgkmcnt(1)
	v_mul_f32_e32 v69, v55, v3
	s_waitcnt vmcnt(3)
	v_mul_f32_e32 v70, v56, v15
	v_mul_f32_e32 v1, v92, v1
	v_add3_u32 v79, 0, v61, v79
	ds_load_b32 v97, v32
	ds_load_2addr_b32 v[59:60], v31 offset0:104 offset1:230
	ds_load_2addr_b32 v[61:62], v47 offset0:112 offset1:238
	ds_load_b32 v98, v34
	ds_load_b32 v99, v35
	;; [unrolled: 1-line block ×4, first 2 shown]
	ds_load_b32 v49, v32 offset:7056
	v_mul_f32_e32 v3, v51, v3
	v_dual_fmac_f32 v68, v92, v0 :: v_dual_and_b32 v63, 0xffff, v63
	v_mul_f32_e32 v15, v52, v15
	v_fmac_f32_e32 v69, v51, v2
	v_fmac_f32_e32 v70, v52, v14
	v_fma_f32 v0, v81, v0, -v1
	v_fma_f32 v1, v55, v2, -v3
	;; [unrolled: 1-line block ×3, first 2 shown]
	s_waitcnt vmcnt(0) lgkmcnt(0)
	s_barrier
	buffer_gl0_inv
	v_dual_mul_f32 v102, v59, v19 :: v_dual_mul_f32 v83, v57, v13
	v_dual_mul_f32 v13, v53, v13 :: v_dual_lshlrev_b32 v80, 4, v86
	v_mul_f32_e32 v103, v61, v21
	v_mul_f32_e32 v84, v58, v17
	;; [unrolled: 1-line block ×3, first 2 shown]
	v_dual_mul_f32 v21, v66, v21 :: v_dual_lshlrev_b32 v82, 4, v87
	v_mul_f32_e32 v17, v54, v17
	v_mul_f32_e32 v19, v64, v19
	;; [unrolled: 1-line block ×4, first 2 shown]
	v_dual_mul_f32 v25, v67, v25 :: v_dual_mul_f32 v106, v49, v27
	v_dual_mul_f32 v27, v93, v27 :: v_dual_fmac_f32 v84, v54, v16
	v_dual_fmac_f32 v83, v53, v12 :: v_dual_fmac_f32 v102, v64, v18
	v_dual_fmac_f32 v103, v66, v20 :: v_dual_fmac_f32 v104, v65, v22
	v_fma_f32 v3, v57, v12, -v13
	v_fma_f32 v12, v58, v16, -v17
	;; [unrolled: 1-line block ×5, first 2 shown]
	v_dual_fmac_f32 v105, v67, v24 :: v_dual_fmac_f32 v106, v93, v26
	v_fma_f32 v16, v62, v24, -v25
	v_fma_f32 v17, v49, v26, -v27
	v_dual_add_f32 v18, v73, v68 :: v_dual_add_f32 v19, v68, v69
	v_dual_add_f32 v24, v83, v70 :: v_dual_add_f32 v49, v88, v84
	v_dual_sub_f32 v20, v0, v1 :: v_dual_add_f32 v21, v97, v0
	v_dual_add_f32 v0, v0, v1 :: v_dual_add_f32 v23, v91, v83
	v_dual_add_f32 v51, v84, v102 :: v_dual_add_f32 v56, v103, v104
	v_dual_sub_f32 v27, v83, v70 :: v_dual_sub_f32 v52, v12, v13
	v_dual_add_f32 v53, v99, v12 :: v_dual_add_f32 v12, v12, v13
	v_dual_sub_f32 v57, v14, v15 :: v_dual_add_f32 v58, v100, v14
	v_dual_add_f32 v14, v14, v15 :: v_dual_sub_f32 v59, v103, v104
	v_dual_add_f32 v60, v90, v105 :: v_dual_add_f32 v61, v105, v106
	v_dual_sub_f32 v62, v16, v17 :: v_dual_sub_f32 v65, v105, v106
	v_dual_add_f32 v64, v101, v16 :: v_dual_fmac_f32 v73, -0.5, v19
	v_dual_add_f32 v16, v16, v17 :: v_dual_fmac_f32 v97, -0.5, v0
	v_dual_sub_f32 v22, v68, v69 :: v_dual_sub_f32 v25, v3, v2
	v_dual_add_f32 v26, v98, v3 :: v_dual_add_f32 v3, v3, v2
	v_dual_add_f32 v18, v18, v69 :: v_dual_fmac_f32 v91, -0.5, v24
	v_dual_sub_f32 v54, v84, v102 :: v_dual_add_f32 v55, v89, v103
	v_dual_fmac_f32 v88, -0.5, v51 :: v_dual_fmac_f32 v99, -0.5, v12
	v_dual_fmac_f32 v89, -0.5, v56 :: v_dual_fmac_f32 v100, -0.5, v14
	v_dual_add_f32 v14, v60, v106 :: v_dual_fmac_f32 v101, -0.5, v16
	v_fmac_f32_e32 v90, -0.5, v61
	v_fmamk_f32 v16, v20, 0xbf5db3d7, v73
	v_fmac_f32_e32 v73, 0x3f5db3d7, v20
	v_dual_add_f32 v1, v21, v1 :: v_dual_add_f32 v0, v23, v70
	v_dual_fmac_f32 v98, -0.5, v3 :: v_dual_add_f32 v3, v49, v102
	v_dual_add_f32 v17, v64, v17 :: v_dual_fmamk_f32 v20, v25, 0xbf5db3d7, v91
	v_fmac_f32_e32 v91, 0x3f5db3d7, v25
	v_fmamk_f32 v19, v22, 0x3f5db3d7, v97
	v_dual_fmac_f32 v97, 0xbf5db3d7, v22 :: v_dual_fmamk_f32 v22, v52, 0xbf5db3d7, v88
	v_fmamk_f32 v24, v57, 0xbf5db3d7, v89
	v_dual_add_f32 v2, v26, v2 :: v_dual_add_f32 v13, v53, v13
	v_dual_add_f32 v12, v55, v104 :: v_dual_add_f32 v15, v58, v15
	v_dual_fmac_f32 v88, 0x3f5db3d7, v52 :: v_dual_fmamk_f32 v23, v54, 0x3f5db3d7, v99
	v_dual_fmac_f32 v99, 0xbf5db3d7, v54 :: v_dual_lshlrev_b32 v64, 2, v87
	v_fmac_f32_e32 v89, 0x3f5db3d7, v57
	v_fmamk_f32 v26, v62, 0xbf5db3d7, v90
	v_fmac_f32_e32 v90, 0x3f5db3d7, v62
	ds_store_2addr_b32 v85, v18, v16 offset1:6
	ds_store_b32 v85, v73 offset:48
	ds_store_2addr_b32 v94, v0, v20 offset1:6
	ds_store_b32 v94, v91 offset:48
	;; [unrolled: 2-line block ×5, first 2 shown]
	v_and_b32_e32 v24, 0xffff, v78
	v_fmamk_f32 v21, v27, 0x3f5db3d7, v98
	v_fmac_f32_e32 v98, 0xbf5db3d7, v27
	v_fmamk_f32 v25, v59, 0x3f5db3d7, v100
	v_fmac_f32_e32 v100, 0xbf5db3d7, v59
	;; [unrolled: 2-line block ×3, first 2 shown]
	s_waitcnt lgkmcnt(0)
	s_barrier
	buffer_gl0_inv
	ds_load_b32 v57, v32
	ds_load_2addr_b32 v[55:56], v28 offset0:108 offset1:234
	ds_load_2addr_b32 v[67:68], v29 offset0:116 offset1:242
	;; [unrolled: 1-line block ×4, first 2 shown]
	ds_load_b32 v91, v35
	ds_load_b32 v92, v36
	;; [unrolled: 1-line block ×5, first 2 shown]
	ds_load_b32 v103, v32 offset:7056
	s_waitcnt lgkmcnt(0)
	s_barrier
	buffer_gl0_inv
	v_lshlrev_b32_e32 v20, 4, v24
	ds_store_2addr_b32 v85, v1, v19 offset1:6
	ds_store_b32 v85, v97 offset:48
	ds_store_2addr_b32 v94, v2, v21 offset1:6
	ds_store_b32 v94, v98 offset:48
	;; [unrolled: 2-line block ×5, first 2 shown]
	s_waitcnt lgkmcnt(0)
	s_barrier
	buffer_gl0_inv
	s_clause 0x1
	global_load_b128 v[0:3], v80, s[4:5] offset:128
	global_load_b128 v[12:15], v82, s[4:5] offset:128
	v_sub_nc_u16 v16, v46, v77
	v_lshlrev_b32_e32 v17, 4, v63
	v_mul_u32_u24_e32 v60, 0xd8, v75
	v_mul_u32_u24_e32 v46, 0xd8, v74
	;; [unrolled: 1-line block ×3, first 2 shown]
	v_and_b32_e32 v25, 0xffff, v16
	global_load_b128 v[16:19], v17, s[4:5] offset:128
	v_add_nc_u32_e32 v22, 0xc00, v32
	v_add_nc_u32_e32 v58, 0x1400, v32
	v_lshlrev_b32_e32 v21, 4, v25
	s_clause 0x1
	global_load_b128 v[51:54], v20, s[4:5] offset:128
	global_load_b128 v[79:82], v21, s[4:5] offset:128
	v_and_b32_e32 v27, 0xffff, v72
	ds_load_b32 v75, v50
	v_lshlrev_b32_e32 v63, 2, v63
	ds_load_2addr_b32 v[73:74], v28 offset0:108 offset1:234
	v_add_nc_u32_e32 v21, 0x800, v32
	v_mul_u32_u24_e32 v62, 0xd8, v27
	v_lshlrev_b32_e32 v27, 2, v86
	ds_load_2addr_b32 v[85:86], v29 offset0:116 offset1:242
	v_and_b32_e32 v26, 0xffff, v71
	v_add_nc_u32_e32 v20, 0x400, v32
	v_add3_u32 v28, 0, v62, v64
	v_add_nc_u32_e32 v59, 0x1800, v32
	s_delay_alu instid0(VALU_DEP_4) | instskip(NEXT) | instid1(VALU_DEP_1)
	v_mul_u32_u24_e32 v26, 0xd8, v26
	v_add3_u32 v27, 0, v26, v27
	v_add3_u32 v26, 0, v46, v63
	s_waitcnt vmcnt(4) lgkmcnt(2)
	v_dual_mul_f32 v71, v75, v1 :: v_dual_lshlrev_b32 v24, 2, v24
	s_waitcnt vmcnt(3) lgkmcnt(0)
	v_mul_f32_e32 v64, v85, v13
	v_lshlrev_b32_e32 v50, 2, v25
	v_mul_f32_e32 v72, v73, v3
	v_mul_f32_e32 v66, v74, v15
	v_add3_u32 v25, 0, v60, v24
	v_mul_f32_e32 v1, v102, v1
	v_add3_u32 v24, 0, v61, v50
	ds_load_b32 v50, v32
	ds_load_2addr_b32 v[87:88], v31 offset0:104 offset1:230
	ds_load_2addr_b32 v[89:90], v47 offset0:112 offset1:238
	ds_load_b32 v47, v34
	ds_load_b32 v31, v35
	;; [unrolled: 1-line block ×4, first 2 shown]
	ds_load_b32 v94, v32 offset:7056
	v_add_nc_u32_e32 v23, 0x1000, v32
	s_waitcnt vmcnt(2)
	v_mul_f32_e32 v63, v86, v17
	v_mul_f32_e32 v3, v55, v3
	v_fmac_f32_e32 v72, v55, v2
	v_mul_f32_e32 v13, v67, v13
	v_mul_f32_e32 v15, v56, v15
	v_fmac_f32_e32 v66, v56, v14
	v_mul_f32_e32 v17, v68, v17
	v_fma_f32 v78, v75, v0, -v1
	v_fma_f32 v75, v73, v2, -v3
	;; [unrolled: 1-line block ×3, first 2 shown]
	s_waitcnt vmcnt(0) lgkmcnt(0)
	s_barrier
	v_dual_mul_f32 v65, v87, v19 :: v_dual_mul_f32 v30, v89, v52
	v_dual_mul_f32 v60, v88, v54 :: v_dual_mul_f32 v61, v90, v80
	v_mul_f32_e32 v19, v69, v19
	s_delay_alu instid0(VALU_DEP_3)
	v_dual_fmac_f32 v71, v102, v0 :: v_dual_fmac_f32 v30, v83, v51
	v_mul_f32_e32 v62, v94, v82
	v_mul_f32_e32 v80, v84, v80
	v_dual_fmac_f32 v64, v67, v12 :: v_dual_fmac_f32 v65, v69, v18
	v_mul_f32_e32 v52, v83, v52
	v_mul_f32_e32 v54, v70, v54
	v_dual_mul_f32 v82, v103, v82 :: v_dual_fmac_f32 v63, v68, v16
	v_dual_fmac_f32 v60, v70, v53 :: v_dual_fmac_f32 v61, v84, v79
	v_fmac_f32_e32 v62, v103, v81
	v_dual_add_f32 v0, v57, v71 :: v_dual_add_f32 v1, v71, v72
	v_fma_f32 v74, v74, v14, -v15
	v_dual_add_f32 v12, v64, v66 :: v_dual_add_f32 v15, v63, v65
	v_fma_f32 v76, v86, v16, -v17
	v_fma_f32 v73, v87, v18, -v19
	;; [unrolled: 1-line block ×6, first 2 shown]
	v_dual_add_f32 v17, v92, v30 :: v_dual_add_f32 v18, v30, v60
	v_add_f32_e32 v52, v61, v62
	v_dual_sub_f32 v2, v78, v75 :: v_dual_add_f32 v3, v93, v64
	v_fmac_f32_e32 v57, -0.5, v1
	v_dual_sub_f32 v13, v77, v74 :: v_dual_add_f32 v14, v91, v63
	v_dual_fmac_f32 v93, -0.5, v12 :: v_dual_fmac_f32 v92, -0.5, v18
	v_dual_sub_f32 v16, v76, v73 :: v_dual_sub_f32 v19, v69, v67
	v_dual_add_f32 v51, v49, v61 :: v_dual_add_f32 v0, v0, v72
	v_sub_f32_e32 v53, v70, v68
	v_fmac_f32_e32 v91, -0.5, v15
	v_fmac_f32_e32 v49, -0.5, v52
	v_dual_add_f32 v12, v17, v60 :: v_dual_fmamk_f32 v15, v2, 0xbf5db3d7, v57
	v_fmac_f32_e32 v57, 0x3f5db3d7, v2
	v_dual_add_f32 v1, v3, v66 :: v_dual_fmamk_f32 v2, v13, 0xbf5db3d7, v93
	v_fmac_f32_e32 v93, 0x3f5db3d7, v13
	v_dual_add_f32 v3, v14, v65 :: v_dual_add_f32 v14, v51, v62
	v_fmamk_f32 v13, v16, 0xbf5db3d7, v91
	v_fmac_f32_e32 v91, 0x3f5db3d7, v16
	v_fmamk_f32 v16, v19, 0xbf5db3d7, v92
	v_fmac_f32_e32 v92, 0x3f5db3d7, v19
	v_fmamk_f32 v17, v53, 0xbf5db3d7, v49
	buffer_gl0_inv
	v_fmac_f32_e32 v49, 0x3f5db3d7, v53
	ds_store_2addr_b32 v27, v0, v15 offset1:18
	ds_store_b32 v27, v57 offset:144
	ds_store_2addr_b32 v28, v1, v2 offset1:18
	ds_store_b32 v28, v93 offset:144
	;; [unrolled: 2-line block ×5, first 2 shown]
	s_waitcnt lgkmcnt(0)
	s_barrier
	buffer_gl0_inv
	ds_load_2addr_b32 v[18:19], v20 offset0:14 offset1:140
	ds_load_2addr_b32 v[16:17], v21 offset0:28 offset1:154
	;; [unrolled: 1-line block ×6, first 2 shown]
	ds_load_b32 v52, v32
	ds_load_b32 v51, v34
                                        ; implicit-def: $vgpr55
                                        ; implicit-def: $vgpr53
                                        ; implicit-def: $vgpr54
                                        ; implicit-def: $vgpr56
                                        ; implicit-def: $vgpr57
	s_and_saveexec_b32 s1, s0
	s_cbranch_execz .LBB0_21
; %bb.20:
	ds_load_b32 v8, v32 offset:2088
	ds_load_b32 v55, v32 offset:3168
	;; [unrolled: 1-line block ×5, first 2 shown]
	ds_load_b32 v49, v35
	ds_load_b32 v54, v32 offset:7488
.LBB0_21:
	s_or_b32 exec_lo, exec_lo, s1
	v_add_f32_e32 v79, v78, v75
	v_dual_add_f32 v78, v50, v78 :: v_dual_sub_f32 v71, v71, v72
	v_dual_add_f32 v72, v77, v74 :: v_dual_sub_f32 v63, v63, v65
	v_sub_f32_e32 v30, v30, v60
	s_delay_alu instid0(VALU_DEP_4) | instskip(SKIP_2) | instid1(VALU_DEP_3)
	v_dual_fmac_f32 v50, -0.5, v79 :: v_dual_add_f32 v77, v47, v77
	v_add_f32_e32 v79, v76, v73
	v_dual_add_f32 v75, v78, v75 :: v_dual_sub_f32 v64, v64, v66
	v_dual_fmac_f32 v47, -0.5, v72 :: v_dual_fmamk_f32 v72, v71, 0x3f5db3d7, v50
	v_fmac_f32_e32 v50, 0xbf5db3d7, v71
	v_dual_add_f32 v66, v77, v74 :: v_dual_add_f32 v71, v31, v76
	v_fmac_f32_e32 v31, -0.5, v79
	s_delay_alu instid0(VALU_DEP_4) | instskip(NEXT) | instid1(VALU_DEP_3)
	v_dual_fmamk_f32 v65, v64, 0x3f5db3d7, v47 :: v_dual_add_f32 v60, v46, v70
	v_dual_fmac_f32 v47, 0xbf5db3d7, v64 :: v_dual_add_f32 v64, v71, v73
	v_add_f32_e32 v71, v69, v67
	v_add_f32_e32 v69, v29, v69
	v_fmamk_f32 v73, v63, 0x3f5db3d7, v31
	v_sub_f32_e32 v61, v61, v62
	v_fmac_f32_e32 v31, 0xbf5db3d7, v63
	v_add_f32_e32 v63, v70, v68
	v_fmac_f32_e32 v29, -0.5, v71
	v_add_f32_e32 v62, v69, v67
	s_waitcnt lgkmcnt(0)
	s_barrier
	s_delay_alu instid0(VALU_DEP_2)
	v_dual_fmac_f32 v46, -0.5, v63 :: v_dual_fmamk_f32 v63, v30, 0x3f5db3d7, v29
	v_dual_fmac_f32 v29, 0xbf5db3d7, v30 :: v_dual_add_f32 v30, v60, v68
	buffer_gl0_inv
	v_fmamk_f32 v60, v61, 0x3f5db3d7, v46
	v_fmac_f32_e32 v46, 0xbf5db3d7, v61
	ds_store_2addr_b32 v27, v75, v72 offset1:18
	ds_store_b32 v27, v50 offset:144
	ds_store_2addr_b32 v28, v66, v65 offset1:18
	ds_store_b32 v28, v47 offset:144
	;; [unrolled: 2-line block ×5, first 2 shown]
	s_waitcnt lgkmcnt(0)
	s_barrier
	buffer_gl0_inv
	ds_load_2addr_b32 v[30:31], v20 offset0:14 offset1:140
	ds_load_2addr_b32 v[28:29], v21 offset0:28 offset1:154
	;; [unrolled: 1-line block ×6, first 2 shown]
	ds_load_b32 v50, v32
	ds_load_b32 v47, v34
                                        ; implicit-def: $vgpr61
                                        ; implicit-def: $vgpr59
                                        ; implicit-def: $vgpr60
                                        ; implicit-def: $vgpr62
                                        ; implicit-def: $vgpr63
	s_and_saveexec_b32 s1, s0
	s_cbranch_execz .LBB0_23
; %bb.22:
	ds_load_b32 v11, v32 offset:2088
	ds_load_b32 v61, v32 offset:3168
	;; [unrolled: 1-line block ×5, first 2 shown]
	ds_load_b32 v46, v35
	ds_load_b32 v60, v32 offset:7488
.LBB0_23:
	s_or_b32 exec_lo, exec_lo, s1
	v_mul_lo_u16 v48, v48, 19
	v_mul_lo_u16 v10, v10, 19
	s_delay_alu instid0(VALU_DEP_2) | instskip(NEXT) | instid1(VALU_DEP_2)
	v_lshrrev_b16 v48, 10, v48
	v_lshrrev_b16 v10, 10, v10
	s_delay_alu instid0(VALU_DEP_2) | instskip(NEXT) | instid1(VALU_DEP_2)
	v_mul_lo_u16 v58, v48, 54
	v_mul_lo_u16 v64, v10, 54
	s_delay_alu instid0(VALU_DEP_2) | instskip(NEXT) | instid1(VALU_DEP_2)
	v_sub_nc_u16 v58, v39, v58
	v_sub_nc_u16 v45, v45, v64
	s_delay_alu instid0(VALU_DEP_2) | instskip(NEXT) | instid1(VALU_DEP_1)
	v_and_b32_e32 v58, 0xff, v58
	v_mul_u32_u24_e32 v65, 6, v58
	s_delay_alu instid0(VALU_DEP_1)
	v_lshlrev_b32_e32 v64, 3, v65
	v_lshrrev_b16 v65, 1, v44
	s_clause 0x1
	global_load_b128 v[76:79], v64, s[4:5] offset:416
	global_load_b128 v[80:83], v64, s[4:5] offset:432
	s_waitcnt vmcnt(1) lgkmcnt(6)
	v_dual_mul_f32 v70, v28, v79 :: v_dual_and_b32 v45, 0xff, v45
	s_delay_alu instid0(VALU_DEP_1)
	v_mul_u32_u24_e32 v66, 6, v45
	v_mul_f32_e32 v71, v30, v77
	v_mul_f32_e32 v79, v16, v79
	;; [unrolled: 1-line block ×3, first 2 shown]
	s_waitcnt vmcnt(0) lgkmcnt(4)
	v_dual_mul_f32 v73, v24, v83 :: v_dual_lshlrev_b32 v66, 3, v66
	s_clause 0x1
	global_load_b128 v[84:87], v64, s[4:5] offset:448
	global_load_b128 v[88:91], v66, s[4:5] offset:416
	v_and_b32_e32 v65, 0xffff, v65
	s_clause 0x1
	global_load_b128 v[92:95], v66, s[4:5] offset:432
	global_load_b128 v[96:99], v66, s[4:5] offset:448
	v_mul_f32_e32 v72, v26, v81
	v_mul_f32_e32 v81, v14, v81
	v_mul_u32_u24_e32 v64, 0x97b5, v65
	v_dual_mul_f32 v83, v12, v83 :: v_dual_and_b32 v10, 0xffff, v10
	v_fmac_f32_e32 v70, v16, v78
	v_fma_f32 v16, v28, v78, -v79
	s_delay_alu instid0(VALU_DEP_4) | instskip(NEXT) | instid1(VALU_DEP_1)
	v_lshrrev_b32_e32 v64, 20, v64
	v_mul_lo_u16 v64, v64, 54
	s_delay_alu instid0(VALU_DEP_1) | instskip(NEXT) | instid1(VALU_DEP_1)
	v_sub_nc_u16 v44, v44, v64
	v_and_b32_e32 v64, 0xffff, v44
	s_delay_alu instid0(VALU_DEP_1) | instskip(NEXT) | instid1(VALU_DEP_1)
	v_mul_u32_u24_e32 v44, 6, v64
	v_lshlrev_b32_e32 v44, 3, v44
	s_clause 0x2
	global_load_b128 v[100:103], v44, s[4:5] offset:416
	global_load_b128 v[104:107], v44, s[4:5] offset:432
	;; [unrolled: 1-line block ×3, first 2 shown]
	v_and_b32_e32 v44, 0xffff, v48
	v_lshlrev_b32_e32 v48, 2, v58
	v_lshlrev_b32_e32 v58, 2, v45
	s_waitcnt vmcnt(0) lgkmcnt(0)
	s_barrier
	v_mul_u32_u24_e32 v44, 0x5e8, v44
	buffer_gl0_inv
	v_mul_f32_e32 v74, v22, v85
	v_mul_f32_e32 v85, v2, v85
	v_mul_u32_u24_e32 v10, 0x5e8, v10
	v_mul_f32_e32 v75, v20, v87
	v_add3_u32 v45, 0, v44, v48
	v_dual_mul_f32 v87, v0, v87 :: v_dual_mul_f32 v66, v27, v93
	v_mul_f32_e32 v69, v21, v99
	v_add3_u32 v44, 0, v10, v58
	s_delay_alu instid0(VALU_DEP_4)
	v_add_nc_u32_e32 v58, 0x200, v45
	v_lshl_add_u32 v10, v64, 2, 0
	v_mul_f32_e32 v64, v29, v91
	v_mul_f32_e32 v91, v17, v91
	;; [unrolled: 1-line block ×3, first 2 shown]
	v_dual_mul_f32 v93, v15, v93 :: v_dual_fmac_f32 v72, v14, v80
	v_dual_mul_f32 v95, v13, v95 :: v_dual_mul_f32 v68, v23, v97
	v_mul_f32_e32 v99, v1, v99
	v_dual_mul_f32 v97, v3, v97 :: v_dual_fmac_f32 v74, v2, v84
	v_dual_mul_f32 v65, v31, v89 :: v_dual_add_nc_u32 v48, 0x200, v44
	v_mul_f32_e32 v89, v19, v89
	v_dual_fmac_f32 v73, v12, v82 :: v_dual_fmac_f32 v66, v15, v92
	v_dual_fmac_f32 v75, v0, v86 :: v_dual_fmac_f32 v68, v3, v96
	v_fma_f32 v12, v29, v90, -v91
	v_fma_f32 v0, v27, v92, -v93
	v_fmac_f32_e32 v67, v13, v94
	v_fma_f32 v13, v25, v94, -v95
	v_fma_f32 v3, v23, v96, -v97
	v_dual_fmac_f32 v71, v18, v76 :: v_dual_fmac_f32 v64, v17, v90
	v_fma_f32 v18, v30, v76, -v77
	v_fma_f32 v14, v26, v80, -v81
	;; [unrolled: 1-line block ×4, first 2 shown]
	v_fmac_f32_e32 v65, v19, v88
	v_fma_f32 v2, v31, v88, -v89
	v_dual_fmac_f32 v69, v1, v98 :: v_dual_mul_f32 v26, v59, v107
	v_fma_f32 v1, v21, v98, -v99
	v_mul_f32_e32 v24, v11, v101
	v_dual_mul_f32 v19, v57, v105 :: v_dual_sub_f32 v88, v12, v3
	v_dual_mul_f32 v27, v62, v109 :: v_dual_sub_f32 v90, v13, v0
	v_fma_f32 v20, v20, v86, -v87
	v_dual_mul_f32 v15, v8, v101 :: v_dual_mul_f32 v78, v54, v111
	v_dual_mul_f32 v17, v55, v103 :: v_dual_sub_f32 v82, v16, v22
	v_dual_mul_f32 v25, v63, v105 :: v_dual_sub_f32 v84, v76, v14
	;; [unrolled: 1-line block ×3, first 2 shown]
	v_dual_add_f32 v79, v71, v75 :: v_dual_fmac_f32 v24, v8, v100
	v_fma_f32 v8, v63, v104, -v19
	v_add_f32_e32 v63, v90, v88
	v_dual_mul_f32 v23, v61, v103 :: v_dual_sub_f32 v80, v18, v20
	v_add_f32_e32 v81, v70, v74
	v_fma_f32 v31, v59, v106, -v21
	s_delay_alu instid0(VALU_DEP_4)
	v_add_f32_e32 v63, v63, v86
	v_add_f32_e32 v21, v84, v82
	v_dual_mul_f32 v77, v56, v109 :: v_dual_fmac_f32 v26, v53, v106
	v_mul_f32_e32 v28, v60, v111
	v_add_f32_e32 v83, v72, v73
	v_fma_f32 v29, v11, v100, -v15
	v_add_f32_e32 v21, v21, v80
	v_fmac_f32_e32 v27, v56, v108
	v_dual_sub_f32 v56, v80, v84 :: v_dual_add_f32 v11, v81, v79
	v_fma_f32 v30, v61, v102, -v17
	v_dual_fmac_f32 v28, v54, v110 :: v_dual_sub_f32 v17, v79, v83
	v_add_f32_e32 v85, v65, v69
	s_delay_alu instid0(VALU_DEP_4) | instskip(SKIP_3) | instid1(VALU_DEP_4)
	v_add_f32_e32 v11, v83, v11
	v_sub_f32_e32 v19, v83, v81
	v_fmac_f32_e32 v25, v57, v104
	v_mul_f32_e32 v17, 0x3f4a47b2, v17
	v_dual_sub_f32 v57, v82, v80 :: v_dual_add_f32 v52, v52, v11
	s_delay_alu instid0(VALU_DEP_4) | instskip(NEXT) | instid1(VALU_DEP_3)
	v_dual_add_f32 v87, v64, v68 :: v_dual_mul_f32 v80, 0x3d64c772, v19
	v_fmamk_f32 v19, v19, 0x3d64c772, v17
	v_fma_f32 v54, v60, v110, -v78
	s_delay_alu instid0(VALU_DEP_4) | instskip(NEXT) | instid1(VALU_DEP_4)
	v_dual_fmamk_f32 v11, v11, 0xbf955555, v52 :: v_dual_sub_f32 v78, v86, v90
	v_dual_add_f32 v89, v66, v67 :: v_dual_sub_f32 v60, v87, v85
	v_fmac_f32_e32 v23, v55, v102
	v_add_f32_e32 v59, v87, v85
	s_delay_alu instid0(VALU_DEP_4)
	v_add_f32_e32 v19, v19, v11
	v_sub_f32_e32 v55, v84, v82
	v_fma_f32 v53, v62, v108, -v77
	v_sub_f32_e32 v15, v81, v79
	v_sub_f32_e32 v61, v85, v89
	v_dual_sub_f32 v62, v89, v87 :: v_dual_sub_f32 v77, v90, v88
	v_mul_f32_e32 v55, 0x3f08b237, v55
	v_mul_f32_e32 v81, 0xbf5ff5aa, v57
	v_add_f32_e32 v59, v89, v59
	v_sub_f32_e32 v79, v88, v86
	v_mul_f32_e32 v61, 0x3f4a47b2, v61
	v_mul_f32_e32 v82, 0x3d64c772, v62
	;; [unrolled: 1-line block ×3, first 2 shown]
	v_fma_f32 v80, 0x3f3bfb3b, v15, -v80
	v_fma_f32 v15, 0xbf3bfb3b, v15, -v17
	v_fmamk_f32 v17, v56, 0xbeae86e6, v55
	v_fma_f32 v55, 0xbf5ff5aa, v57, -v55
	v_fma_f32 v56, 0x3eae86e6, v56, -v81
	v_add_f32_e32 v51, v51, v59
	v_mul_f32_e32 v83, 0xbf5ff5aa, v79
	v_fmamk_f32 v57, v62, 0x3d64c772, v61
	v_fma_f32 v62, 0x3f3bfb3b, v60, -v82
	v_fma_f32 v60, 0xbf3bfb3b, v60, -v61
	v_fmamk_f32 v61, v78, 0xbeae86e6, v77
	v_fmac_f32_e32 v17, 0xbee1c552, v21
	v_fmac_f32_e32 v55, 0xbee1c552, v21
	;; [unrolled: 1-line block ×3, first 2 shown]
	v_fmamk_f32 v21, v59, 0xbf955555, v51
	v_fma_f32 v77, 0xbf5ff5aa, v79, -v77
	v_fma_f32 v78, 0x3eae86e6, v78, -v83
	v_add_f32_e32 v59, v80, v11
	v_add_f32_e32 v11, v15, v11
	v_fmac_f32_e32 v61, 0xbee1c552, v63
	v_add_f32_e32 v15, v57, v21
	v_fmac_f32_e32 v77, 0xbee1c552, v63
	v_dual_fmac_f32 v78, 0xbee1c552, v63 :: v_dual_add_f32 v57, v62, v21
	v_dual_add_f32 v21, v60, v21 :: v_dual_add_f32 v60, v17, v19
	v_add_f32_e32 v62, v56, v11
	v_sub_f32_e32 v63, v59, v55
	v_add_f32_e32 v55, v55, v59
	v_sub_f32_e32 v11, v11, v56
	v_sub_f32_e32 v17, v19, v17
	v_dual_add_f32 v19, v61, v15 :: v_dual_add_f32 v56, v78, v21
	v_sub_f32_e32 v59, v57, v77
	v_add_f32_e32 v57, v77, v57
	v_sub_f32_e32 v21, v21, v78
	v_sub_f32_e32 v15, v15, v61
	ds_store_2addr_b32 v45, v52, v60 offset1:54
	ds_store_2addr_b32 v45, v62, v63 offset0:108 offset1:162
	ds_store_2addr_b32 v58, v55, v11 offset0:88 offset1:142
	ds_store_b32 v45, v17 offset:1296
	ds_store_2addr_b32 v44, v51, v19 offset1:54
	ds_store_2addr_b32 v44, v56, v59 offset0:108 offset1:162
	ds_store_2addr_b32 v48, v57, v21 offset0:88 offset1:142
	ds_store_b32 v44, v15 offset:1296
	s_and_saveexec_b32 s1, s0
	s_cbranch_execz .LBB0_25
; %bb.24:
	v_dual_add_f32 v11, v24, v28 :: v_dual_sub_f32 v52, v30, v53
	v_add_f32_e32 v15, v25, v26
	v_add_f32_e32 v17, v23, v27
	v_sub_f32_e32 v19, v31, v8
	v_sub_f32_e32 v55, v29, v54
	s_delay_alu instid0(VALU_DEP_4) | instskip(NEXT) | instid1(VALU_DEP_4)
	v_sub_f32_e32 v21, v11, v15
	v_dual_add_f32 v51, v17, v11 :: v_dual_sub_f32 v56, v15, v17
	s_delay_alu instid0(VALU_DEP_3) | instskip(NEXT) | instid1(VALU_DEP_3)
	v_sub_f32_e32 v57, v52, v55
	v_dual_sub_f32 v60, v55, v19 :: v_dual_mul_f32 v21, 0x3f4a47b2, v21
	v_sub_f32_e32 v11, v17, v11
	s_delay_alu instid0(VALU_DEP_4) | instskip(NEXT) | instid1(VALU_DEP_4)
	v_mul_f32_e32 v59, 0x3d64c772, v56
	v_mul_f32_e32 v17, 0xbf5ff5aa, v57
	s_delay_alu instid0(VALU_DEP_4)
	v_dual_fmamk_f32 v56, v56, 0x3d64c772, v21 :: v_dual_add_f32 v15, v15, v51
	v_sub_f32_e32 v51, v19, v52
	v_add_f32_e32 v19, v19, v52
	v_fma_f32 v21, 0xbf3bfb3b, v11, -v21
	v_fma_f32 v17, 0x3eae86e6, v60, -v17
	v_add_f32_e32 v49, v49, v15
	v_mul_f32_e32 v51, 0x3f08b237, v51
	v_add_f32_e32 v19, v19, v55
	v_fma_f32 v11, 0x3f3bfb3b, v11, -v59
	s_delay_alu instid0(VALU_DEP_4) | instskip(NEXT) | instid1(VALU_DEP_4)
	v_fmamk_f32 v15, v15, 0xbf955555, v49
	v_fma_f32 v52, 0xbf5ff5aa, v57, -v51
	v_fmamk_f32 v51, v60, 0xbeae86e6, v51
	v_fmac_f32_e32 v17, 0xbee1c552, v19
	v_add_nc_u32_e32 v57, 0x1800, v10
	v_add_f32_e32 v21, v21, v15
	v_add_f32_e32 v11, v11, v15
	;; [unrolled: 1-line block ×3, first 2 shown]
	v_fmac_f32_e32 v51, 0xbee1c552, v19
	s_delay_alu instid0(VALU_DEP_4) | instskip(SKIP_1) | instid1(VALU_DEP_3)
	v_dual_fmac_f32 v52, 0xbee1c552, v19 :: v_dual_sub_f32 v19, v21, v17
	v_dual_add_f32 v17, v17, v21 :: v_dual_add_nc_u32 v56, 0x1600, v10
	v_add_f32_e32 v21, v51, v15
	s_delay_alu instid0(VALU_DEP_3)
	v_sub_f32_e32 v55, v11, v52
	v_add_f32_e32 v11, v52, v11
	v_sub_f32_e32 v15, v15, v51
	ds_store_2addr_b32 v56, v49, v21 offset0:104 offset1:158
	ds_store_2addr_b32 v57, v17, v55 offset0:84 offset1:138
	;; [unrolled: 1-line block ×3, first 2 shown]
	ds_store_b32 v10, v15 offset:7344
.LBB0_25:
	s_or_b32 exec_lo, exec_lo, s1
	v_add_f32_e32 v11, v18, v20
	v_dual_add_f32 v15, v16, v22 :: v_dual_add_f32 v14, v14, v76
	v_dual_sub_f32 v16, v71, v75 :: v_dual_sub_f32 v17, v70, v74
	s_delay_alu instid0(VALU_DEP_2) | instskip(SKIP_1) | instid1(VALU_DEP_4)
	v_dual_sub_f32 v18, v73, v72 :: v_dual_add_f32 v19, v15, v11
	v_sub_f32_e32 v20, v15, v11
	v_sub_f32_e32 v11, v11, v14
	v_add_f32_e32 v1, v2, v1
	s_delay_alu instid0(VALU_DEP_4)
	v_add_f32_e32 v21, v18, v17
	v_sub_f32_e32 v15, v14, v15
	v_add_f32_e32 v14, v14, v19
	v_mul_f32_e32 v11, 0x3f4a47b2, v11
	s_waitcnt lgkmcnt(0)
	s_barrier
	buffer_gl0_inv
	v_dual_add_f32 v49, v50, v14 :: v_dual_add_f32 v2, v12, v3
	v_sub_f32_e32 v3, v65, v69
	v_add_f32_e32 v0, v0, v13
	v_sub_f32_e32 v12, v67, v66
	s_delay_alu instid0(VALU_DEP_4)
	v_fmamk_f32 v14, v14, 0xbf955555, v49
	v_dual_sub_f32 v19, v18, v17 :: v_dual_sub_f32 v18, v16, v18
	v_sub_f32_e32 v17, v17, v16
	v_dual_add_f32 v16, v21, v16 :: v_dual_mul_f32 v21, 0x3d64c772, v15
	v_fmamk_f32 v15, v15, 0x3d64c772, v11
	v_add_f32_e32 v13, v2, v1
	s_delay_alu instid0(VALU_DEP_3) | instskip(NEXT) | instid1(VALU_DEP_3)
	v_fma_f32 v21, 0x3f3bfb3b, v20, -v21
	v_dual_add_f32 v52, v15, v14 :: v_dual_mul_f32 v19, 0x3f08b237, v19
	s_delay_alu instid0(VALU_DEP_1) | instskip(SKIP_2) | instid1(VALU_DEP_2)
	v_fmamk_f32 v50, v18, 0xbeae86e6, v19
	v_mul_f32_e32 v22, 0xbf5ff5aa, v17
	v_fma_f32 v17, 0xbf5ff5aa, v17, -v19
	v_fma_f32 v51, 0x3eae86e6, v18, -v22
	s_delay_alu instid0(VALU_DEP_2) | instskip(SKIP_2) | instid1(VALU_DEP_2)
	v_fmac_f32_e32 v17, 0xbee1c552, v16
	v_fmac_f32_e32 v50, 0xbee1c552, v16
	v_lshl_add_u32 v22, v43, 2, 0
	v_dual_fmac_f32 v51, 0xbee1c552, v16 :: v_dual_sub_f32 v56, v52, v50
	v_fma_f32 v11, 0xbf3bfb3b, v20, -v11
	s_delay_alu instid0(VALU_DEP_1) | instskip(NEXT) | instid1(VALU_DEP_1)
	v_add_f32_e32 v55, v11, v14
	v_sub_f32_e32 v57, v55, v51
	v_dual_add_f32 v15, v21, v14 :: v_dual_sub_f32 v14, v2, v1
	v_dual_sub_f32 v1, v1, v0 :: v_dual_sub_f32 v2, v0, v2
	s_delay_alu instid0(VALU_DEP_2) | instskip(NEXT) | instid1(VALU_DEP_2)
	v_dual_add_f32 v0, v0, v13 :: v_dual_add_f32 v59, v17, v15
	v_dual_add_f32 v50, v50, v52 :: v_dual_mul_f32 v1, 0x3f4a47b2, v1
	v_sub_f32_e32 v11, v64, v68
	s_delay_alu instid0(VALU_DEP_3) | instskip(SKIP_1) | instid1(VALU_DEP_2)
	v_add_f32_e32 v47, v47, v0
	v_sub_f32_e32 v60, v15, v17
	v_dual_add_f32 v43, v51, v55 :: v_dual_fmamk_f32 v0, v0, 0xbf955555, v47
	s_delay_alu instid0(VALU_DEP_4) | instskip(SKIP_2) | instid1(VALU_DEP_1)
	v_add_f32_e32 v15, v12, v11
	v_sub_f32_e32 v13, v12, v11
	v_sub_f32_e32 v11, v11, v3
	v_mul_f32_e32 v16, 0xbf5ff5aa, v11
	v_sub_f32_e32 v12, v3, v12
	v_add_f32_e32 v3, v15, v3
	v_dual_mul_f32 v15, 0x3d64c772, v2 :: v_dual_fmamk_f32 v2, v2, 0x3d64c772, v1
	v_fma_f32 v1, 0xbf3bfb3b, v14, -v1
	s_delay_alu instid0(VALU_DEP_4) | instskip(NEXT) | instid1(VALU_DEP_3)
	v_fma_f32 v63, 0x3eae86e6, v12, -v16
	v_fma_f32 v15, 0x3f3bfb3b, v14, -v15
	s_delay_alu instid0(VALU_DEP_4) | instskip(SKIP_1) | instid1(VALU_DEP_4)
	v_add_f32_e32 v64, v2, v0
	v_add_nc_u32_e32 v2, 0x1400, v32
	v_dual_add_f32 v66, v1, v0 :: v_dual_fmac_f32 v63, 0xbee1c552, v3
	s_delay_alu instid0(VALU_DEP_4) | instskip(SKIP_2) | instid1(VALU_DEP_4)
	v_add_f32_e32 v65, v15, v0
	v_mul_f32_e32 v13, 0x3f08b237, v13
	v_add_nc_u32_e32 v0, 0x1000, v32
	v_dual_sub_f32 v52, v66, v63 :: v_dual_add_nc_u32 v15, 0x1800, v32
	v_add_f32_e32 v63, v63, v66
	s_delay_alu instid0(VALU_DEP_4) | instskip(SKIP_1) | instid1(VALU_DEP_2)
	v_fma_f32 v62, 0xbf5ff5aa, v11, -v13
	v_add_nc_u32_e32 v11, 0x600, v32
	v_fmac_f32_e32 v62, 0xbee1c552, v3
	s_delay_alu instid0(VALU_DEP_1) | instskip(SKIP_1) | instid1(VALU_DEP_1)
	v_dual_add_f32 v55, v62, v65 :: v_dual_sub_f32 v62, v65, v62
	v_fmamk_f32 v61, v12, 0xbeae86e6, v13
	v_fmac_f32_e32 v61, 0xbee1c552, v3
	v_add_nc_u32_e32 v12, 0xc00, v32
	ds_load_2addr_b32 v[0:1], v0 offset0:110 offset1:236
	ds_load_2addr_b32 v[2:3], v2 offset0:106 offset1:232
	v_sub_f32_e32 v51, v64, v61
	ds_load_b32 v17, v32
	ds_load_b32 v20, v22
	;; [unrolled: 1-line block ×3, first 2 shown]
	ds_load_2addr_b32 v[13:14], v11 offset0:120 offset1:246
	ds_load_2addr_b32 v[11:12], v12 offset0:114 offset1:240
	ds_load_2addr_b32 v[15:16], v15 offset0:102 offset1:228
	ds_load_b32 v21, v36
	ds_load_b32 v19, v35
	v_add_f32_e32 v61, v61, v64
	s_waitcnt lgkmcnt(0)
	s_barrier
	buffer_gl0_inv
	ds_store_2addr_b32 v45, v49, v56 offset1:54
	ds_store_2addr_b32 v45, v57, v59 offset0:108 offset1:162
	ds_store_2addr_b32 v58, v60, v43 offset0:88 offset1:142
	ds_store_b32 v45, v50 offset:1296
	ds_store_2addr_b32 v44, v47, v51 offset1:54
	ds_store_2addr_b32 v44, v52, v55 offset0:108 offset1:162
	ds_store_2addr_b32 v48, v62, v63 offset0:88 offset1:142
	ds_store_b32 v44, v61 offset:1296
	s_and_saveexec_b32 s1, s0
	s_cbranch_execz .LBB0_27
; %bb.26:
	v_dual_add_f32 v29, v29, v54 :: v_dual_add_f32 v30, v30, v53
	v_dual_sub_f32 v24, v24, v28 :: v_dual_sub_f32 v23, v23, v27
	v_dual_add_f32 v8, v8, v31 :: v_dual_sub_f32 v25, v26, v25
	s_delay_alu instid0(VALU_DEP_3) | instskip(NEXT) | instid1(VALU_DEP_2)
	v_add_f32_e32 v26, v30, v29
	v_dual_sub_f32 v27, v30, v29 :: v_dual_sub_f32 v28, v29, v8
	s_delay_alu instid0(VALU_DEP_3) | instskip(NEXT) | instid1(VALU_DEP_3)
	v_dual_sub_f32 v29, v8, v30 :: v_dual_add_f32 v30, v25, v23
	v_add_f32_e32 v8, v8, v26
	v_dual_sub_f32 v26, v25, v23 :: v_dual_sub_f32 v25, v24, v25
	s_delay_alu instid0(VALU_DEP_3)
	v_mul_f32_e32 v31, 0x3d64c772, v29
	v_sub_f32_e32 v23, v23, v24
	v_add_f32_e32 v24, v30, v24
	v_mul_f32_e32 v28, 0x3f4a47b2, v28
	v_add_f32_e32 v30, v46, v8
	v_fma_f32 v31, 0x3f3bfb3b, v27, -v31
	v_mul_f32_e32 v43, 0xbf5ff5aa, v23
	s_delay_alu instid0(VALU_DEP_4) | instskip(NEXT) | instid1(VALU_DEP_4)
	v_fmamk_f32 v29, v29, 0x3d64c772, v28
	v_fmamk_f32 v8, v8, 0xbf955555, v30
	v_mul_f32_e32 v26, 0x3f08b237, v26
	v_fma_f32 v27, 0xbf3bfb3b, v27, -v28
	s_delay_alu instid0(VALU_DEP_2)
	v_fma_f32 v23, 0xbf5ff5aa, v23, -v26
	v_fmamk_f32 v28, v25, 0xbeae86e6, v26
	v_fma_f32 v25, 0x3eae86e6, v25, -v43
	v_add_f32_e32 v26, v29, v8
	v_add_f32_e32 v29, v31, v8
	v_fmac_f32_e32 v23, 0xbee1c552, v24
	v_fmac_f32_e32 v28, 0xbee1c552, v24
	;; [unrolled: 1-line block ×3, first 2 shown]
	v_add_nc_u32_e32 v43, 0x1800, v10
	s_delay_alu instid0(VALU_DEP_4) | instskip(SKIP_2) | instid1(VALU_DEP_2)
	v_add_f32_e32 v31, v23, v29
	v_dual_add_f32 v8, v27, v8 :: v_dual_sub_f32 v23, v29, v23
	v_dual_sub_f32 v24, v26, v28 :: v_dual_add_nc_u32 v29, 0x1600, v10
	v_dual_sub_f32 v27, v8, v25 :: v_dual_add_f32 v8, v25, v8
	v_add_f32_e32 v25, v28, v26
	ds_store_2addr_b32 v29, v30, v24 offset0:104 offset1:158
	ds_store_2addr_b32 v43, v27, v31 offset0:84 offset1:138
	;; [unrolled: 1-line block ×3, first 2 shown]
	ds_store_b32 v10, v25 offset:7344
.LBB0_27:
	s_or_b32 exec_lo, exec_lo, s1
	s_waitcnt lgkmcnt(0)
	s_barrier
	buffer_gl0_inv
	s_and_saveexec_b32 s0, vcc_lo
	s_cbranch_execz .LBB0_29
; %bb.28:
	v_dual_mov_b32 v8, 0 :: v_dual_add_nc_u32 v65, 0xc00, v32
	v_mad_u64_u32 v[57:58], null, s8, v38, 0
	v_add_nc_u32_e32 v69, 0x1400, v32
	s_delay_alu instid0(VALU_DEP_3) | instskip(SKIP_3) | instid1(VALU_DEP_4)
	v_lshlrev_b64 v[23:24], 3, v[7:8]
	v_dual_mov_b32 v10, v8 :: v_dual_add_nc_u32 v67, 0x1800, v32
	v_mov_b32_e32 v7, v8
	v_mad_u64_u32 v[55:56], null, s8, v42, 0
	v_add_co_u32 v27, vcc_lo, s4, v23
	v_add_co_ci_u32_e32 v28, vcc_lo, s5, v24, vcc_lo
	v_lshlrev_b64 v[9:10], 3, v[9:10]
	v_add_nc_u32_e32 v86, 0x46e, v39
	v_add_nc_u32_e32 v87, 0x5e8, v39
	s_clause 0x1
	global_load_b128 v[23:26], v[27:28], off offset:3008
	global_load_b128 v[27:30], v[27:28], off offset:3024
	v_mad_u64_u32 v[59:60], null, s8, v40, 0
	v_add_co_u32 v43, vcc_lo, s4, v9
	v_add_co_ci_u32_e32 v44, vcc_lo, s5, v10, vcc_lo
	v_add_nc_u32_e32 v10, 0x600, v32
	v_lshlrev_b64 v[47:48], 3, v[6:7]
	s_clause 0x1
	global_load_b128 v[6:9], v[43:44], off offset:3024
	global_load_b128 v[43:46], v[43:44], off offset:3008
	v_mad_u64_u32 v[61:62], null, s8, v33, 0
	v_add_co_u32 v51, vcc_lo, s4, v47
	v_add_co_ci_u32_e32 v52, vcc_lo, s5, v48, vcc_lo
	s_clause 0x1
	global_load_b128 v[47:50], v[51:52], off offset:3008
	global_load_b128 v[51:54], v[51:52], off offset:3024
	ds_load_b32 v89, v36
	ds_load_b32 v90, v35
	;; [unrolled: 1-line block ×5, first 2 shown]
	v_mad_u64_u32 v[34:35], null, s8, v41, 0
	v_lshrrev_b32_e32 v22, 1, v37
	v_add_nc_u32_e32 v71, 0x1000, v32
	v_mad_u64_u32 v[31:32], null, s8, v39, 0
	v_add_co_u32 v4, vcc_lo, s10, v4
	s_delay_alu instid0(VALU_DEP_4)
	v_mul_hi_u32 v85, 0xad602b59, v22
	v_mov_b32_e32 v22, v35
	ds_load_2addr_b32 v[63:64], v10 offset0:120 offset1:246
	ds_load_2addr_b32 v[65:66], v65 offset0:114 offset1:240
	;; [unrolled: 1-line block ×5, first 2 shown]
	v_mov_b32_e32 v35, v58
	v_mad_u64_u32 v[73:74], null, s8, v86, 0
	v_mov_b32_e32 v10, v32
	v_mov_b32_e32 v32, v56
	v_mad_u64_u32 v[75:76], null, s8, v87, 0
	v_mov_b32_e32 v36, v60
	s_delay_alu instid0(VALU_DEP_4)
	v_mad_u64_u32 v[81:82], null, s9, v39, v[10:11]
	v_mov_b32_e32 v10, v74
	v_mov_b32_e32 v56, v62
	v_add_co_ci_u32_e32 v5, vcc_lo, s11, v5, vcc_lo
	s_waitcnt vmcnt(5)
	v_mad_u64_u32 v[82:83], null, s9, v41, v[22:23]
	v_mov_b32_e32 v22, v76
	v_mad_u64_u32 v[83:84], null, s9, v42, v[32:33]
	v_mad_u64_u32 v[41:42], null, s9, v38, v[35:36]
	v_lshrrev_b32_e32 v35, 7, v85
	v_mad_u64_u32 v[84:85], null, s9, v86, v[10:11]
	v_mad_u64_u32 v[85:86], null, s9, v87, v[22:23]
	v_mul_f32_e32 v22, v12, v26
	s_waitcnt lgkmcnt(3)
	v_mul_f32_e32 v26, v66, v26
	v_add_nc_u32_e32 v94, 0x666, v39
	s_delay_alu instid0(VALU_DEP_3) | instskip(SKIP_1) | instid1(VALU_DEP_3)
	v_fma_f32 v22, v25, v66, -v22
	s_waitcnt vmcnt(2)
	v_dual_fmac_f32 v26, v12, v25 :: v_dual_mul_f32 v25, v65, v46
	v_mul_f32_e32 v10, v14, v24
	v_mul_f32_e32 v24, v64, v24
	v_mad_u64_u32 v[79:80], null, s8, v94, 0
	s_delay_alu instid0(VALU_DEP_4) | instskip(NEXT) | instid1(VALU_DEP_4)
	v_dual_fmac_f32 v25, v11, v45 :: v_dual_add_nc_u32 v88, 0x4ec, v39
	v_fma_f32 v10, v23, v64, -v10
	s_delay_alu instid0(VALU_DEP_4)
	v_dual_fmac_f32 v24, v14, v23 :: v_dual_mul_f32 v23, v63, v44
	v_mad_u64_u32 v[38:39], null, s9, v40, v[36:37]
	v_mad_u64_u32 v[39:40], null, s9, v33, v[56:57]
	v_mov_b32_e32 v33, v80
	v_mad_u64_u32 v[77:78], null, s8, v88, 0
	v_mov_b32_e32 v58, v41
	v_sub_f32_e32 v80, v22, v10
	v_mov_b32_e32 v56, v83
	v_dual_mov_b32 v62, v39 :: v_dual_sub_f32 v83, v26, v24
	v_dual_fmac_f32 v23, v13, v43 :: v_dual_mov_b32 v32, v78
	v_mul_f32_e32 v14, v15, v9
	s_delay_alu instid0(VALU_DEP_3) | instskip(SKIP_4) | instid1(VALU_DEP_3)
	v_lshlrev_b64 v[41:42], 3, v[61:62]
	v_mul_f32_e32 v62, v2, v28
	s_waitcnt lgkmcnt(1)
	v_dual_mul_f32 v28, v69, v28 :: v_dual_mul_f32 v61, v16, v30
	v_mul_f32_e32 v30, v68, v30
	v_fma_f32 v62, v27, v69, -v62
	s_delay_alu instid0(VALU_DEP_3)
	v_fmac_f32_e32 v28, v2, v27
	s_waitcnt lgkmcnt(0)
	v_mul_f32_e32 v27, v72, v7
	v_mad_u64_u32 v[86:87], null, s9, v88, v[32:33]
	v_fma_f32 v61, v29, v68, -v61
	v_fmac_f32_e32 v30, v16, v29
	v_dual_mul_f32 v16, v1, v7 :: v_dual_mul_f32 v29, v67, v9
	s_waitcnt vmcnt(1)
	v_dual_mov_b32 v32, v81 :: v_dual_mul_f32 v9, v20, v50
	v_mov_b32_e32 v78, v86
	v_mul_f32_e32 v50, v92, v50
	v_fma_f32 v67, v8, v67, -v14
	v_fmac_f32_e32 v29, v15, v8
	v_sub_f32_e32 v15, v23, v25
	v_fma_f32 v16, v6, v72, -v16
	v_mul_f32_e32 v2, v13, v44
	v_mul_f32_e32 v7, v21, v48
	v_fmac_f32_e32 v27, v1, v6
	v_sub_f32_e32 v81, v62, v61
	v_dual_sub_f32 v13, v67, v16 :: v_dual_fmac_f32 v50, v20, v49
	s_waitcnt vmcnt(0)
	v_mul_f32_e32 v44, v3, v54
	v_mul_f32_e32 v54, v70, v54
	v_fma_f32 v6, v89, v47, -v7
	v_mov_b32_e32 v74, v84
	v_sub_f32_e32 v84, v28, v30
	v_fma_f32 v44, v53, v70, -v44
	v_fmac_f32_e32 v54, v3, v53
	v_sub_f32_e32 v53, v23, v29
	v_fma_f32 v63, v43, v63, -v2
	v_mul_f32_e32 v12, v11, v46
	v_mul_f32_e32 v46, v0, v52
	;; [unrolled: 1-line block ×3, first 2 shown]
	v_fma_f32 v43, v49, v92, -v9
	v_mad_u64_u32 v[87:88], null, s9, v94, v[33:34]
	v_fma_f32 v65, v45, v65, -v12
	v_fma_f32 v45, v51, v71, -v46
	v_sub_f32_e32 v64, v10, v22
	v_sub_f32_e32 v86, v43, v6
	v_mad_u32_u24 v88, 0x5e8, v35, v37
	s_delay_alu instid0(VALU_DEP_4)
	v_dual_sub_f32 v12, v63, v65 :: v_dual_sub_f32 v89, v45, v44
	v_fmac_f32_e32 v48, v21, v47
	v_mul_f32_e32 v52, v71, v52
	v_add_f32_e32 v71, v23, v29
	v_dual_mov_b32 v35, v82 :: v_dual_mov_b32 v76, v85
	v_dual_sub_f32 v21, v65, v63 :: v_dual_add_f32 v82, v10, v61
	v_add_f32_e32 v97, v12, v13
	v_add_f32_e32 v49, v80, v81
	v_fma_f32 v12, -0.5, v71, v18
	v_add_f32_e32 v71, v86, v89
	v_sub_f32_e32 v81, v48, v50
	v_dual_fmac_f32 v52, v0, v51 :: v_dual_add_f32 v51, v83, v84
	v_dual_mov_b32 v60, v38 :: v_dual_add_f32 v85, v24, v30
	v_lshlrev_b64 v[33:34], 3, v[34:35]
	v_lshlrev_b64 v[35:36], 3, v[55:56]
	v_sub_f32_e32 v69, v24, v30
	v_lshlrev_b64 v[37:38], 3, v[57:58]
	v_lshlrev_b64 v[39:40], 3, v[59:60]
	;; [unrolled: 1-line block ×3, first 2 shown]
	v_sub_f32_e32 v77, v10, v61
	v_lshlrev_b64 v[57:58], 3, v[75:76]
	v_sub_f32_e32 v75, v30, v28
	v_lshlrev_b64 v[55:56], 3, v[73:74]
	v_dual_add_f32 v76, v26, v28 :: v_dual_add_f32 v95, v48, v54
	v_fma_f32 v3, -0.5, v82, v90
	v_sub_f32_e32 v74, v24, v26
	v_fma_f32 v2, -0.5, v85, v19
	v_dual_sub_f32 v85, v43, v45 :: v_dual_sub_f32 v72, v6, v43
	v_add_f32_e32 v24, v19, v24
	v_add_f32_e32 v68, v22, v62
	v_fma_f32 v0, -0.5, v76, v19
	v_sub_f32_e32 v19, v29, v27
	v_lshlrev_b64 v[31:32], 3, v[31:32]
	v_add_f32_e32 v11, v24, v26
	v_sub_f32_e32 v73, v26, v28
	v_sub_f32_e32 v78, v22, v62
	v_fma_f32 v1, -0.5, v68, v90
	v_sub_f32_e32 v66, v61, v62
	s_delay_alu instid0(VALU_DEP_4) | instskip(SKIP_4) | instid1(VALU_DEP_4)
	v_dual_add_f32 v98, v15, v19 :: v_dual_fmamk_f32 v9, v73, 0xbf737871, v3
	v_dual_fmac_f32 v3, 0x3f737871, v73 :: v_dual_add_f32 v14, v65, v16
	v_add_f32_e32 v47, v74, v75
	v_add_f32_e32 v75, v43, v45
	v_fmamk_f32 v7, v69, 0xbf737871, v1
	v_fmac_f32_e32 v3, 0xbf167918, v69
	v_dual_fmac_f32 v1, 0x3f737871, v69 :: v_dual_add_f32 v46, v64, v66
	v_dual_fmac_f32 v9, 0x3f167918, v69 :: v_dual_add_f32 v28, v11, v28
	v_fma_f32 v11, -0.5, v14, v91
	v_sub_f32_e32 v66, v63, v67
	v_sub_f32_e32 v84, v6, v44
	v_add_f32_e32 v96, v6, v93
	v_add_f32_e32 v10, v10, v90
	v_fma_f32 v15, -0.5, v75, v93
	v_add_f32_e32 v24, v63, v67
	v_add_f32_e32 v63, v63, v91
	;; [unrolled: 1-line block ×3, first 2 shown]
	v_sub_f32_e32 v70, v27, v29
	v_dual_fmac_f32 v7, 0xbf167918, v73 :: v_dual_sub_f32 v26, v25, v23
	v_dual_sub_f32 v82, v54, v52 :: v_dual_fmac_f32 v3, 0x3e9e377a, v49
	v_add_f32_e32 v19, v30, v28
	v_add_f32_e32 v83, v50, v52
	;; [unrolled: 1-line block ×3, first 2 shown]
	v_dual_add_f32 v43, v45, v43 :: v_dual_add_f32 v70, v26, v70
	v_add_f32_e32 v26, v65, v63
	s_delay_alu instid0(VALU_DEP_4)
	v_fma_f32 v14, -0.5, v83, v17
	v_sub_f32_e32 v68, v65, v16
	v_add_f32_e32 v65, v81, v82
	v_dual_sub_f32 v76, v48, v54 :: v_dual_fmac_f32 v9, 0x3e9e377a, v49
	v_dual_add_f32 v10, v22, v10 :: v_dual_fmac_f32 v1, 0x3f167918, v73
	v_sub_f32_e32 v64, v25, v27
	v_sub_f32_e32 v92, v50, v48
	v_add_f32_e32 v48, v17, v48
	v_fma_f32 v17, -0.5, v95, v17
	v_sub_f32_e32 v22, v16, v67
	v_add_f32_e32 v16, v16, v26
	v_fmamk_f32 v26, v76, 0xbf737871, v15
	v_fmac_f32_e32 v15, 0x3f737871, v76
	v_fma_f32 v13, -0.5, v24, v91
	v_dual_add_f32 v20, v25, v27 :: v_dual_add_f32 v25, v23, v25
	v_dual_sub_f32 v80, v50, v52 :: v_dual_fmac_f32 v1, 0x3e9e377a, v46
	v_add_f32_e32 v48, v48, v50
	v_add_co_u32 v31, vcc_lo, v4, v31
	s_delay_alu instid0(VALU_DEP_4)
	v_dual_add_f32 v50, v25, v27 :: v_dual_fmamk_f32 v25, v84, 0x3f737871, v14
	v_fmamk_f32 v23, v68, 0xbf737871, v12
	v_fmamk_f32 v24, v64, 0x3f737871, v13
	v_fmac_f32_e32 v13, 0xbf737871, v64
	v_add_f32_e32 v90, v6, v44
	v_add_co_ci_u32_e32 v32, vcc_lo, v5, v32, vcc_lo
	v_add_co_u32 v33, vcc_lo, v4, v33
	s_delay_alu instid0(VALU_DEP_4)
	v_fmac_f32_e32 v13, 0x3f167918, v53
	v_dual_sub_f32 v74, v44, v45 :: v_dual_fmac_f32 v7, 0x3e9e377a, v46
	v_fmamk_f32 v27, v85, 0x3f737871, v17
	v_add_f32_e32 v99, v21, v22
	v_fmamk_f32 v22, v53, 0xbf737871, v11
	v_dual_fmac_f32 v11, 0x3f737871, v53 :: v_dual_sub_f32 v94, v52, v54
	v_fmac_f32_e32 v25, 0x3f167918, v85
	v_add_co_ci_u32_e32 v34, vcc_lo, v5, v34, vcc_lo
	s_delay_alu instid0(VALU_DEP_3)
	v_fmac_f32_e32 v11, 0x3f167918, v64
	v_add_co_u32 v35, vcc_lo, v4, v35
	v_dual_add_f32 v62, v62, v10 :: v_dual_fmac_f32 v15, 0x3f167918, v80
	v_fma_f32 v10, -0.5, v20, v18
	v_fma_f32 v18, -0.5, v90, v93
	v_add_co_ci_u32_e32 v36, vcc_lo, v5, v36, vcc_lo
	v_add_co_u32 v37, vcc_lo, v4, v37
	v_fmac_f32_e32 v17, 0xbf737871, v85
	v_add_f32_e32 v63, v72, v74
	v_fmac_f32_e32 v23, 0x3f167918, v66
	v_fmac_f32_e32 v27, 0xbf167918, v84
	;; [unrolled: 1-line block ×3, first 2 shown]
	v_add_f32_e32 v29, v29, v50
	v_dual_add_f32 v72, v92, v94 :: v_dual_fmac_f32 v11, 0x3e9e377a, v97
	v_fmac_f32_e32 v14, 0xbf737871, v84
	v_add_co_ci_u32_e32 v38, vcc_lo, v5, v38, vcc_lo
	v_fmamk_f32 v28, v80, 0xbf737871, v18
	v_add_co_u32 v39, vcc_lo, v4, v39
	v_fmac_f32_e32 v18, 0x3f737871, v80
	v_add_co_ci_u32_e32 v40, vcc_lo, v5, v40, vcc_lo
	v_fmamk_f32 v21, v66, 0x3f737871, v10
	v_fmac_f32_e32 v10, 0xbf737871, v66
	v_fmac_f32_e32 v27, 0x3e9e377a, v72
	v_add_f32_e32 v45, v48, v52
	v_add_co_u32 v41, vcc_lo, v4, v41
	v_fmac_f32_e32 v12, 0x3f737871, v68
	v_fmac_f32_e32 v14, 0xbf167918, v85
	;; [unrolled: 1-line block ×3, first 2 shown]
	v_add_co_ci_u32_e32 v42, vcc_lo, v5, v42, vcc_lo
	v_fmac_f32_e32 v18, 0xbf167918, v76
	v_fmac_f32_e32 v17, 0x3f167918, v84
	v_add_co_u32 v55, vcc_lo, v4, v55
	v_fmac_f32_e32 v26, 0xbf167918, v80
	v_fmamk_f32 v6, v77, 0x3f737871, v0
	v_fmac_f32_e32 v10, 0xbf167918, v68
	v_dual_add_f32 v44, v44, v43 :: v_dual_add_f32 v43, v54, v45
	v_add_co_ci_u32_e32 v56, vcc_lo, v5, v56, vcc_lo
	v_dual_add_f32 v20, v61, v62 :: v_dual_fmac_f32 v15, 0x3e9e377a, v63
	v_fmac_f32_e32 v12, 0xbf167918, v66
	v_fmac_f32_e32 v14, 0x3e9e377a, v65
	v_add_co_u32 v57, vcc_lo, v4, v57
	v_fmac_f32_e32 v28, 0x3e9e377a, v71
	v_dual_fmac_f32 v18, 0x3e9e377a, v71 :: v_dual_fmac_f32 v17, 0x3e9e377a, v72
	v_add_co_ci_u32_e32 v58, vcc_lo, v5, v58, vcc_lo
	v_fmac_f32_e32 v26, 0x3e9e377a, v63
	v_fmac_f32_e32 v24, 0xbf167918, v53
	v_add_f32_e32 v30, v67, v16
	v_fmac_f32_e32 v10, 0x3e9e377a, v98
	s_clause 0x6
	global_store_b64 v[31:32], v[43:44], off
	global_store_b64 v[33:34], v[14:15], off
	;; [unrolled: 1-line block ×7, first 2 shown]
	v_add_nc_u32_e32 v27, 0x2f4, v88
	v_dual_fmac_f32 v13, 0x3e9e377a, v99 :: v_dual_fmac_f32 v12, 0x3e9e377a, v70
	v_add_nc_u32_e32 v18, 0x17a, v88
	v_add_co_u32 v10, vcc_lo, v4, v59
	v_dual_fmac_f32 v24, 0x3e9e377a, v99 :: v_dual_fmac_f32 v23, 0x3e9e377a, v70
	v_add_co_ci_u32_e32 v11, vcc_lo, v5, v60, vcc_lo
	v_dual_mov_b32 v80, v87 :: v_dual_add_nc_u32 v29, 0x46e, v88
	v_mad_u64_u32 v[14:15], null, s8, v88, 0
	v_mad_u64_u32 v[16:17], null, s8, v27, 0
	global_store_b64 v[41:42], v[12:13], off
	v_mad_u64_u32 v[12:13], null, s8, v18, 0
	global_store_b64 v[10:11], v[23:24], off
	v_lshlrev_b64 v[10:11], 3, v[79:80]
	v_fmac_f32_e32 v22, 0xbf167918, v64
	v_fmac_f32_e32 v21, 0x3f167918, v68
	v_mad_u64_u32 v[23:24], null, s9, v88, v[15:16]
	v_mad_u64_u32 v[24:25], null, s9, v18, v[13:14]
	;; [unrolled: 1-line block ×3, first 2 shown]
	v_dual_fmamk_f32 v8, v78, 0x3f737871, v2 :: v_dual_mov_b32 v13, v17
	v_add_co_u32 v10, vcc_lo, v4, v10
	v_add_nc_u32_e32 v30, 0x5e8, v88
	v_dual_fmac_f32 v22, 0x3e9e377a, v97 :: v_dual_fmac_f32 v21, 0x3e9e377a, v98
	v_add_co_ci_u32_e32 v11, vcc_lo, v5, v11, vcc_lo
	v_mad_u64_u32 v[17:18], null, s9, v27, v[13:14]
	s_delay_alu instid0(VALU_DEP_4)
	v_mad_u64_u32 v[27:28], null, s8, v30, 0
	v_dual_fmac_f32 v2, 0xbf737871, v78 :: v_dual_mov_b32 v13, v24
	global_store_b64 v[10:11], v[21:22], off
	v_mov_b32_e32 v10, v26
	v_dual_fmac_f32 v0, 0xbf737871, v77 :: v_dual_mov_b32 v15, v23
	v_lshlrev_b64 v[16:17], 3, v[16:17]
	v_fmac_f32_e32 v8, 0xbf167918, v77
	s_delay_alu instid0(VALU_DEP_4)
	v_mad_u64_u32 v[21:22], null, s9, v29, v[10:11]
	v_lshlrev_b64 v[11:12], 3, v[12:13]
	v_mov_b32_e32 v10, v28
	v_lshlrev_b64 v[14:15], 3, v[14:15]
	v_fmac_f32_e32 v0, 0xbf167918, v78
	v_fmac_f32_e32 v2, 0x3f167918, v77
	;; [unrolled: 1-line block ×3, first 2 shown]
	v_mad_u64_u32 v[22:23], null, s9, v30, v[10:11]
	v_add_co_u32 v14, vcc_lo, v4, v14
	v_mov_b32_e32 v26, v21
	v_add_co_ci_u32_e32 v15, vcc_lo, v5, v15, vcc_lo
	v_add_co_u32 v10, vcc_lo, v4, v11
	v_mov_b32_e32 v28, v22
	v_add_co_ci_u32_e32 v11, vcc_lo, v5, v12, vcc_lo
	v_lshlrev_b64 v[12:13], 3, v[25:26]
	v_add_co_u32 v16, vcc_lo, v4, v16
	s_delay_alu instid0(VALU_DEP_4) | instskip(SKIP_1) | instid1(VALU_DEP_4)
	v_lshlrev_b64 v[21:22], 3, v[27:28]
	v_add_co_ci_u32_e32 v17, vcc_lo, v5, v17, vcc_lo
	v_add_co_u32 v12, vcc_lo, v4, v12
	v_fmac_f32_e32 v0, 0x3e9e377a, v47
	v_add_co_ci_u32_e32 v13, vcc_lo, v5, v13, vcc_lo
	v_fmac_f32_e32 v8, 0x3e9e377a, v51
	v_add_co_u32 v4, vcc_lo, v4, v21
	v_fmac_f32_e32 v2, 0x3e9e377a, v51
	v_fmac_f32_e32 v6, 0x3e9e377a, v47
	v_add_co_ci_u32_e32 v5, vcc_lo, v5, v22, vcc_lo
	s_clause 0x4
	global_store_b64 v[14:15], v[19:20], off
	global_store_b64 v[10:11], v[0:1], off
	;; [unrolled: 1-line block ×5, first 2 shown]
.LBB0_29:
	s_nop 0
	s_sendmsg sendmsg(MSG_DEALLOC_VGPRS)
	s_endpgm
	.section	.rodata,"a",@progbits
	.p2align	6, 0x0
	.amdhsa_kernel fft_rtc_back_len1890_factors_2_3_3_3_7_5_wgs_126_tpt_126_halfLds_sp_ip_CI_sbrr_dirReg
		.amdhsa_group_segment_fixed_size 0
		.amdhsa_private_segment_fixed_size 0
		.amdhsa_kernarg_size 88
		.amdhsa_user_sgpr_count 15
		.amdhsa_user_sgpr_dispatch_ptr 0
		.amdhsa_user_sgpr_queue_ptr 0
		.amdhsa_user_sgpr_kernarg_segment_ptr 1
		.amdhsa_user_sgpr_dispatch_id 0
		.amdhsa_user_sgpr_private_segment_size 0
		.amdhsa_wavefront_size32 1
		.amdhsa_uses_dynamic_stack 0
		.amdhsa_enable_private_segment 0
		.amdhsa_system_sgpr_workgroup_id_x 1
		.amdhsa_system_sgpr_workgroup_id_y 0
		.amdhsa_system_sgpr_workgroup_id_z 0
		.amdhsa_system_sgpr_workgroup_info 0
		.amdhsa_system_vgpr_workitem_id 0
		.amdhsa_next_free_vgpr 112
		.amdhsa_next_free_sgpr 23
		.amdhsa_reserve_vcc 1
		.amdhsa_float_round_mode_32 0
		.amdhsa_float_round_mode_16_64 0
		.amdhsa_float_denorm_mode_32 3
		.amdhsa_float_denorm_mode_16_64 3
		.amdhsa_dx10_clamp 1
		.amdhsa_ieee_mode 1
		.amdhsa_fp16_overflow 0
		.amdhsa_workgroup_processor_mode 1
		.amdhsa_memory_ordered 1
		.amdhsa_forward_progress 0
		.amdhsa_shared_vgpr_count 0
		.amdhsa_exception_fp_ieee_invalid_op 0
		.amdhsa_exception_fp_denorm_src 0
		.amdhsa_exception_fp_ieee_div_zero 0
		.amdhsa_exception_fp_ieee_overflow 0
		.amdhsa_exception_fp_ieee_underflow 0
		.amdhsa_exception_fp_ieee_inexact 0
		.amdhsa_exception_int_div_zero 0
	.end_amdhsa_kernel
	.text
.Lfunc_end0:
	.size	fft_rtc_back_len1890_factors_2_3_3_3_7_5_wgs_126_tpt_126_halfLds_sp_ip_CI_sbrr_dirReg, .Lfunc_end0-fft_rtc_back_len1890_factors_2_3_3_3_7_5_wgs_126_tpt_126_halfLds_sp_ip_CI_sbrr_dirReg
                                        ; -- End function
	.section	.AMDGPU.csdata,"",@progbits
; Kernel info:
; codeLenInByte = 12568
; NumSgprs: 25
; NumVgprs: 112
; ScratchSize: 0
; MemoryBound: 0
; FloatMode: 240
; IeeeMode: 1
; LDSByteSize: 0 bytes/workgroup (compile time only)
; SGPRBlocks: 3
; VGPRBlocks: 13
; NumSGPRsForWavesPerEU: 25
; NumVGPRsForWavesPerEU: 112
; Occupancy: 12
; WaveLimiterHint : 1
; COMPUTE_PGM_RSRC2:SCRATCH_EN: 0
; COMPUTE_PGM_RSRC2:USER_SGPR: 15
; COMPUTE_PGM_RSRC2:TRAP_HANDLER: 0
; COMPUTE_PGM_RSRC2:TGID_X_EN: 1
; COMPUTE_PGM_RSRC2:TGID_Y_EN: 0
; COMPUTE_PGM_RSRC2:TGID_Z_EN: 0
; COMPUTE_PGM_RSRC2:TIDIG_COMP_CNT: 0
	.text
	.p2alignl 7, 3214868480
	.fill 96, 4, 3214868480
	.type	__hip_cuid_a713c383eaee8614,@object ; @__hip_cuid_a713c383eaee8614
	.section	.bss,"aw",@nobits
	.globl	__hip_cuid_a713c383eaee8614
__hip_cuid_a713c383eaee8614:
	.byte	0                               ; 0x0
	.size	__hip_cuid_a713c383eaee8614, 1

	.ident	"AMD clang version 19.0.0git (https://github.com/RadeonOpenCompute/llvm-project roc-6.4.0 25133 c7fe45cf4b819c5991fe208aaa96edf142730f1d)"
	.section	".note.GNU-stack","",@progbits
	.addrsig
	.addrsig_sym __hip_cuid_a713c383eaee8614
	.amdgpu_metadata
---
amdhsa.kernels:
  - .args:
      - .actual_access:  read_only
        .address_space:  global
        .offset:         0
        .size:           8
        .value_kind:     global_buffer
      - .offset:         8
        .size:           8
        .value_kind:     by_value
      - .actual_access:  read_only
        .address_space:  global
        .offset:         16
        .size:           8
        .value_kind:     global_buffer
      - .actual_access:  read_only
        .address_space:  global
        .offset:         24
        .size:           8
        .value_kind:     global_buffer
      - .offset:         32
        .size:           8
        .value_kind:     by_value
      - .actual_access:  read_only
        .address_space:  global
        .offset:         40
        .size:           8
        .value_kind:     global_buffer
      - .actual_access:  read_only
        .address_space:  global
        .offset:         48
        .size:           8
        .value_kind:     global_buffer
      - .offset:         56
        .size:           4
        .value_kind:     by_value
      - .actual_access:  read_only
        .address_space:  global
        .offset:         64
        .size:           8
        .value_kind:     global_buffer
      - .actual_access:  read_only
        .address_space:  global
        .offset:         72
        .size:           8
        .value_kind:     global_buffer
      - .address_space:  global
        .offset:         80
        .size:           8
        .value_kind:     global_buffer
    .group_segment_fixed_size: 0
    .kernarg_segment_align: 8
    .kernarg_segment_size: 88
    .language:       OpenCL C
    .language_version:
      - 2
      - 0
    .max_flat_workgroup_size: 126
    .name:           fft_rtc_back_len1890_factors_2_3_3_3_7_5_wgs_126_tpt_126_halfLds_sp_ip_CI_sbrr_dirReg
    .private_segment_fixed_size: 0
    .sgpr_count:     25
    .sgpr_spill_count: 0
    .symbol:         fft_rtc_back_len1890_factors_2_3_3_3_7_5_wgs_126_tpt_126_halfLds_sp_ip_CI_sbrr_dirReg.kd
    .uniform_work_group_size: 1
    .uses_dynamic_stack: false
    .vgpr_count:     112
    .vgpr_spill_count: 0
    .wavefront_size: 32
    .workgroup_processor_mode: 1
amdhsa.target:   amdgcn-amd-amdhsa--gfx1100
amdhsa.version:
  - 1
  - 2
...

	.end_amdgpu_metadata
